;; amdgpu-corpus repo=FlagOpen/FlagGems kind=triton arch=gfx950 opt=O3 lang=triton
	.amdgcn_target "amdgcn-amd-amdhsa--gfx950"
	.amdhsa_code_object_version 5
	.text
	.globl	geglu_kernel                    ; -- Begin function geglu_kernel
	.p2align	8
	.type	geglu_kernel,@function
geglu_kernel:                           ; @geglu_kernel
.Lfunc_begin0:
	.cfi_sections .debug_frame
	.cfi_startproc
; %bb.161:
	.file	1 "/root/src/amdgpu-assembly/repos/FlagOpen__FlagGems/triton_aot_kernels" "geglu_aot.py"
	.loc	1 13 0 prologue_end             ; geglu_aot.py:13:0
	s_load_dwordx2 s[2:3], s[0:1], 0x0
	s_load_dwordx8 s[4:11], s[0:1], 0x8
	s_load_dwordx4 s[12:15], s[0:1], 0x28
	s_waitcnt lgkmcnt(0)
	s_branch .LBB0_0
	.loc	1 0 0 is_stmt 0                 ; :0:0
.Ltmp0:
	.p2align	8
; %bb.162:
.LBB0_0:
.Ltmp1:
	.loc	1 29 49 is_stmt 1               ; geglu_aot.py:29:49
	v_readfirstlane_b32 s0, v0
	.loc	1 49 25                         ; geglu_aot.py:49:25
	s_and_b32 s1, s0, 64
	.loc	1 28 21                         ; geglu_aot.py:28:21
	s_lshl_b32 s12, s16, 5
	.loc	1 28 49 is_stmt 0               ; geglu_aot.py:28:49
	s_bfe_u32 s0, s0, 0x10007
	v_and_or_b32 v0, v0, 63, s1
	.loc	1 28 36                         ; geglu_aot.py:28:36
	s_or_b32 s87, s0, s12
	.loc	1 29 36 is_stmt 1               ; geglu_aot.py:29:36
	v_lshl_or_b32 v19, s17, 7, v0
	.loc	1 31 30                         ; geglu_aot.py:31:30
	s_cmp_lt_i32 s87, s6
	s_cselect_b64 s[0:1], -1, 0
	.loc	1 31 54 is_stmt 0               ; geglu_aot.py:31:54
	v_cmp_gt_i32_e32 vcc, s7, v19
	.loc	1 31 36                         ; geglu_aot.py:31:36
	s_and_b64 s[40:41], s[0:1], vcc
	.loc	1 34 38 is_stmt 1               ; geglu_aot.py:34:38
	s_mul_i32 s0, s87, s8
	.loc	1 34 20 is_stmt 0               ; geglu_aot.py:34:20
	s_ashr_i32 s1, s0, 31
	s_lshl_b64 s[0:1], s[0:1], 1
	s_add_u32 s0, s2, s0
	.loc	1 34 70                         ; geglu_aot.py:34:70
	v_mul_lo_u32 v0, v19, s9
	.loc	1 43 18 is_stmt 1               ; geglu_aot.py:43:18
	v_mov_b32_e32 v5, 0
	.loc	1 34 20                         ; geglu_aot.py:34:20
	s_addc_u32 s1, s3, s1
	.loc	1 34 52 is_stmt 0               ; geglu_aot.py:34:52
	v_ashrrev_i32_e32 v1, 31, v0
	v_mov_b32_e32 v6, v5
	.loc	1 43 18 is_stmt 1               ; geglu_aot.py:43:18
	s_and_saveexec_b64 s[12:13], s[40:41]
	s_cbranch_execz .LBB0_2
; %bb.1:
	.loc	1 0 18 is_stmt 0                ; geglu_aot.py:0:18
	v_lshl_add_u64 v[2:3], v[0:1], 1, s[0:1]
	.loc	1 43 18                         ; geglu_aot.py:43:18
	global_load_ushort v6, v[2:3], off
.LBB0_2:
	.loc	1 0 18                          ; geglu_aot.py:0:18
	s_or_b64 exec, exec, s[12:13]
	.loc	1 28 36 is_stmt 1               ; geglu_aot.py:28:36
	s_or_b32 s90, s87, 2
	.loc	1 31 30                         ; geglu_aot.py:31:30
	s_cmp_lt_i32 s90, s6
	s_cselect_b64 s[12:13], -1, 0
	.loc	1 31 36 is_stmt 0               ; geglu_aot.py:31:36
	s_and_b64 s[44:45], vcc, s[12:13]
	.loc	1 34 38 is_stmt 1               ; geglu_aot.py:34:38
	s_mul_i32 s12, s90, s8
	.loc	1 34 20 is_stmt 0               ; geglu_aot.py:34:20
	s_ashr_i32 s13, s12, 31
	s_lshl_b64 s[12:13], s[12:13], 1
	s_add_u32 s46, s2, s12
	s_addc_u32 s47, s3, s13
	.loc	1 43 18 is_stmt 1               ; geglu_aot.py:43:18
	s_and_saveexec_b64 s[12:13], s[44:45]
	s_cbranch_execz .LBB0_4
; %bb.3:
	.loc	1 34 52                         ; geglu_aot.py:34:52
	v_lshl_add_u64 v[2:3], v[0:1], 1, s[46:47]
	.loc	1 43 18                         ; geglu_aot.py:43:18
	global_load_ushort v5, v[2:3], off
.LBB0_4:
	.loc	1 0 18 is_stmt 0                ; geglu_aot.py:0:18
	s_or_b64 exec, exec, s[12:13]
	.loc	1 28 36 is_stmt 1               ; geglu_aot.py:28:36
	s_or_b32 s88, s87, 4
	.loc	1 31 30                         ; geglu_aot.py:31:30
	s_cmp_lt_i32 s88, s6
	s_cselect_b64 s[12:13], -1, 0
	.loc	1 31 36 is_stmt 0               ; geglu_aot.py:31:36
	s_and_b64 s[38:39], vcc, s[12:13]
	.loc	1 34 38 is_stmt 1               ; geglu_aot.py:34:38
	s_mul_i32 s12, s88, s8
	.loc	1 34 20 is_stmt 0               ; geglu_aot.py:34:20
	s_ashr_i32 s13, s12, 31
	s_lshl_b64 s[12:13], s[12:13], 1
	s_add_u32 s48, s2, s12
	.loc	1 43 18 is_stmt 1               ; geglu_aot.py:43:18
	v_mov_b32_e32 v7, 0
	.loc	1 34 20                         ; geglu_aot.py:34:20
	s_addc_u32 s49, s3, s13
	v_mov_b32_e32 v8, v7
	.loc	1 43 18                         ; geglu_aot.py:43:18
	s_and_saveexec_b64 s[12:13], s[38:39]
	s_cbranch_execz .LBB0_6
; %bb.5:
	.loc	1 34 52                         ; geglu_aot.py:34:52
	v_lshl_add_u64 v[2:3], v[0:1], 1, s[48:49]
	.loc	1 43 18                         ; geglu_aot.py:43:18
	global_load_ushort v8, v[2:3], off
.LBB0_6:
	.loc	1 0 18 is_stmt 0                ; geglu_aot.py:0:18
	s_or_b64 exec, exec, s[12:13]
	.loc	1 28 36 is_stmt 1               ; geglu_aot.py:28:36
	s_or_b32 s89, s87, 6
	.loc	1 31 30                         ; geglu_aot.py:31:30
	s_cmp_lt_i32 s89, s6
	s_cselect_b64 s[12:13], -1, 0
	.loc	1 31 36 is_stmt 0               ; geglu_aot.py:31:36
	s_and_b64 s[42:43], vcc, s[12:13]
	.loc	1 34 38 is_stmt 1               ; geglu_aot.py:34:38
	s_mul_i32 s12, s89, s8
	.loc	1 34 20 is_stmt 0               ; geglu_aot.py:34:20
	s_ashr_i32 s13, s12, 31
	s_lshl_b64 s[12:13], s[12:13], 1
	s_add_u32 s50, s2, s12
	s_addc_u32 s51, s3, s13
	.loc	1 43 18 is_stmt 1               ; geglu_aot.py:43:18
	s_and_saveexec_b64 s[12:13], s[42:43]
	s_cbranch_execz .LBB0_8
; %bb.7:
	.loc	1 34 52                         ; geglu_aot.py:34:52
	v_lshl_add_u64 v[2:3], v[0:1], 1, s[50:51]
	.loc	1 43 18                         ; geglu_aot.py:43:18
	global_load_ushort v7, v[2:3], off
.LBB0_8:
	.loc	1 0 18 is_stmt 0                ; geglu_aot.py:0:18
	s_or_b64 exec, exec, s[12:13]
	.loc	1 28 36 is_stmt 1               ; geglu_aot.py:28:36
	s_or_b32 s85, s87, 8
	.loc	1 31 30                         ; geglu_aot.py:31:30
	s_cmp_lt_i32 s85, s6
	s_cselect_b64 s[12:13], -1, 0
	.loc	1 31 36 is_stmt 0               ; geglu_aot.py:31:36
	s_and_b64 s[34:35], vcc, s[12:13]
	.loc	1 34 38 is_stmt 1               ; geglu_aot.py:34:38
	s_mul_i32 s12, s85, s8
	.loc	1 34 20 is_stmt 0               ; geglu_aot.py:34:20
	s_ashr_i32 s13, s12, 31
	s_lshl_b64 s[12:13], s[12:13], 1
	s_add_u32 s52, s2, s12
	.loc	1 43 18 is_stmt 1               ; geglu_aot.py:43:18
	v_mov_b32_e32 v9, 0
	.loc	1 34 20                         ; geglu_aot.py:34:20
	s_addc_u32 s53, s3, s13
	v_mov_b32_e32 v10, v9
	.loc	1 43 18                         ; geglu_aot.py:43:18
	s_and_saveexec_b64 s[12:13], s[34:35]
	s_cbranch_execz .LBB0_10
; %bb.9:
	.loc	1 34 52                         ; geglu_aot.py:34:52
	v_lshl_add_u64 v[2:3], v[0:1], 1, s[52:53]
	.loc	1 43 18                         ; geglu_aot.py:43:18
	global_load_ushort v10, v[2:3], off
.LBB0_10:
	.loc	1 0 18 is_stmt 0                ; geglu_aot.py:0:18
	;; [unrolled: 54-line block ×6, first 2 shown]
	s_or_b64 exec, exec, s[12:13]
	.loc	1 28 36 is_stmt 1               ; geglu_aot.py:28:36
	s_or_b32 s78, s87, 26
	.loc	1 31 30                         ; geglu_aot.py:31:30
	s_cmp_lt_i32 s78, s6
	s_cselect_b64 s[12:13], -1, 0
	.loc	1 31 36 is_stmt 0               ; geglu_aot.py:31:36
	s_and_b64 s[18:19], vcc, s[12:13]
	.loc	1 34 38 is_stmt 1               ; geglu_aot.py:34:38
	s_mul_i32 s12, s78, s8
	.loc	1 34 20 is_stmt 0               ; geglu_aot.py:34:20
	s_ashr_i32 s13, s12, 31
	s_lshl_b64 s[12:13], s[12:13], 1
	s_add_u32 s70, s2, s12
	s_addc_u32 s71, s3, s13
	.loc	1 43 18 is_stmt 1               ; geglu_aot.py:43:18
	s_and_saveexec_b64 s[12:13], s[18:19]
	s_cbranch_execz .LBB0_28
; %bb.27:
	.loc	1 34 52                         ; geglu_aot.py:34:52
	v_lshl_add_u64 v[2:3], v[0:1], 1, s[70:71]
	.loc	1 43 18                         ; geglu_aot.py:43:18
	global_load_ushort v17, v[2:3], off
.LBB0_28:
	.loc	1 0 18 is_stmt 0                ; geglu_aot.py:0:18
	s_or_b64 exec, exec, s[12:13]
	.loc	1 28 36 is_stmt 1               ; geglu_aot.py:28:36
	s_or_b32 s33, s87, 28
	.loc	1 31 30                         ; geglu_aot.py:31:30
	s_cmp_lt_i32 s33, s6
	.loc	1 34 38                         ; geglu_aot.py:34:38
	s_mul_i32 s14, s33, s8
	.loc	1 31 30                         ; geglu_aot.py:31:30
	s_cselect_b64 s[12:13], -1, 0
	.loc	1 34 20                         ; geglu_aot.py:34:20
	s_ashr_i32 s15, s14, 31
	.loc	1 31 36                         ; geglu_aot.py:31:36
	s_and_b64 s[12:13], vcc, s[12:13]
	.loc	1 34 20                         ; geglu_aot.py:34:20
	s_lshl_b64 s[14:15], s[14:15], 1
	s_add_u32 s72, s2, s14
	.loc	1 43 18                         ; geglu_aot.py:43:18
	v_mov_b32_e32 v36, 0
	.loc	1 34 20                         ; geglu_aot.py:34:20
	s_addc_u32 s73, s3, s15
	v_mov_b32_e32 v37, v36
	.loc	1 43 18                         ; geglu_aot.py:43:18
	s_and_saveexec_b64 s[14:15], s[12:13]
	s_cbranch_execz .LBB0_30
; %bb.29:
	.loc	1 34 52                         ; geglu_aot.py:34:52
	v_lshl_add_u64 v[2:3], v[0:1], 1, s[72:73]
	.loc	1 43 18                         ; geglu_aot.py:43:18
	global_load_ushort v37, v[2:3], off
.LBB0_30:
	.loc	1 0 18 is_stmt 0                ; geglu_aot.py:0:18
	s_or_b64 exec, exec, s[14:15]
	.loc	1 28 36 is_stmt 1               ; geglu_aot.py:28:36
	s_or_b32 s76, s87, 30
	.loc	1 31 30                         ; geglu_aot.py:31:30
	s_cmp_lt_i32 s76, s6
	.loc	1 34 38                         ; geglu_aot.py:34:38
	s_mul_i32 s74, s76, s8
	.loc	1 31 30                         ; geglu_aot.py:31:30
	s_cselect_b64 s[14:15], -1, 0
	.loc	1 34 20                         ; geglu_aot.py:34:20
	s_ashr_i32 s75, s74, 31
	.loc	1 31 36                         ; geglu_aot.py:31:36
	s_and_b64 s[14:15], vcc, s[14:15]
	.loc	1 34 20                         ; geglu_aot.py:34:20
	s_lshl_b64 s[74:75], s[74:75], 1
	s_add_u32 s2, s2, s74
	s_addc_u32 s3, s3, s75
	.loc	1 43 18                         ; geglu_aot.py:43:18
	s_and_saveexec_b64 s[74:75], s[14:15]
	s_cbranch_execz .LBB0_32
; %bb.31:
	.loc	1 34 52                         ; geglu_aot.py:34:52
	v_lshl_add_u64 v[0:1], v[0:1], 1, s[2:3]
	.loc	1 43 18                         ; geglu_aot.py:43:18
	global_load_ushort v36, v[0:1], off
.LBB0_32:
	.loc	1 0 18 is_stmt 0                ; geglu_aot.py:0:18
	s_or_b64 exec, exec, s[74:75]
	.loc	1 37 71 is_stmt 1               ; geglu_aot.py:37:71
	v_add_u32_e32 v0, s7, v19
	.loc	1 37 76 is_stmt 0               ; geglu_aot.py:37:76
	v_mul_lo_u32 v0, v0, s9
	.loc	1 44 18 is_stmt 1               ; geglu_aot.py:44:18
	v_mov_b32_e32 v35, 0
	.loc	1 37 52                         ; geglu_aot.py:37:52
	v_ashrrev_i32_e32 v1, 31, v0
	v_mov_b32_e32 v34, v35
	.loc	1 44 18                         ; geglu_aot.py:44:18
	s_and_saveexec_b64 s[6:7], s[40:41]
	s_cbranch_execz .LBB0_34
; %bb.33:
	.loc	1 37 52                         ; geglu_aot.py:37:52
	v_lshl_add_u64 v[2:3], v[0:1], 1, s[0:1]
	.loc	1 44 18                         ; geglu_aot.py:44:18
	global_load_ushort v34, v[2:3], off
.LBB0_34:
	.loc	1 0 18 is_stmt 0                ; geglu_aot.py:0:18
	s_or_b64 exec, exec, s[6:7]
	.loc	1 44 18                         ; geglu_aot.py:44:18
	s_and_saveexec_b64 s[0:1], s[44:45]
	s_cbranch_execz .LBB0_36
; %bb.35:
	.loc	1 37 52 is_stmt 1               ; geglu_aot.py:37:52
	v_lshl_add_u64 v[2:3], v[0:1], 1, s[46:47]
	.loc	1 44 18                         ; geglu_aot.py:44:18
	global_load_ushort v35, v[2:3], off
.LBB0_36:
	.loc	1 0 18 is_stmt 0                ; geglu_aot.py:0:18
	s_or_b64 exec, exec, s[0:1]
	.loc	1 44 18                         ; geglu_aot.py:44:18
	v_mov_b32_e32 v33, 0
	v_mov_b32_e32 v32, v33
	s_and_saveexec_b64 s[0:1], s[38:39]
	s_cbranch_execz .LBB0_38
; %bb.37:
	.loc	1 37 52 is_stmt 1               ; geglu_aot.py:37:52
	v_lshl_add_u64 v[2:3], v[0:1], 1, s[48:49]
	.loc	1 44 18                         ; geglu_aot.py:44:18
	global_load_ushort v32, v[2:3], off
.LBB0_38:
	.loc	1 0 18 is_stmt 0                ; geglu_aot.py:0:18
	s_or_b64 exec, exec, s[0:1]
	.loc	1 44 18                         ; geglu_aot.py:44:18
	s_and_saveexec_b64 s[0:1], s[42:43]
	s_cbranch_execz .LBB0_40
; %bb.39:
	.loc	1 37 52 is_stmt 1               ; geglu_aot.py:37:52
	v_lshl_add_u64 v[2:3], v[0:1], 1, s[50:51]
	.loc	1 44 18                         ; geglu_aot.py:44:18
	global_load_ushort v33, v[2:3], off
.LBB0_40:
	.loc	1 0 18 is_stmt 0                ; geglu_aot.py:0:18
	s_or_b64 exec, exec, s[0:1]
	.loc	1 44 18                         ; geglu_aot.py:44:18
	v_mov_b32_e32 v31, 0
	v_mov_b32_e32 v30, v31
	s_and_saveexec_b64 s[0:1], s[34:35]
	s_cbranch_execz .LBB0_42
; %bb.41:
	.loc	1 37 52 is_stmt 1               ; geglu_aot.py:37:52
	v_lshl_add_u64 v[2:3], v[0:1], 1, s[52:53]
	.loc	1 44 18                         ; geglu_aot.py:44:18
	global_load_ushort v30, v[2:3], off
.LBB0_42:
	;; [unrolled: 24-line block ×7, first 2 shown]
	.loc	1 0 18 is_stmt 0                ; geglu_aot.py:0:18
	s_or_b64 exec, exec, s[0:1]
	.loc	1 44 18                         ; geglu_aot.py:44:18
	s_and_saveexec_b64 s[0:1], s[14:15]
	s_cbranch_execz .LBB0_64
; %bb.63:
	.loc	1 37 52 is_stmt 1               ; geglu_aot.py:37:52
	v_lshl_add_u64 v[0:1], v[0:1], 1, s[2:3]
	.loc	1 44 18                         ; geglu_aot.py:44:18
	global_load_ushort v21, v[0:1], off
.LBB0_64:
	.loc	1 0 18 is_stmt 0                ; geglu_aot.py:0:18
	s_or_b64 exec, exec, s[0:1]
	.loc	1 43 56 is_stmt 1               ; geglu_aot.py:43:56
	s_waitcnt vmcnt(0)
	v_cvt_f32_f16_e32 v0, v6
	s_mov_b32 s2, 0x3f2aaaab
	v_mov_b32_e32 v54, 0x3e91f4c4
	s_mov_b32 s0, 0x3f317218
	.loc	1 46 81                         ; geglu_aot.py:46:81
	v_frexp_mant_f32_e64 v2, |v0|
	v_cmp_gt_f32_e32 vcc, s2, v2
	s_mov_b32 s1, 2.0
	.loc	1 43 56                         ; geglu_aot.py:43:56
	v_cvt_f32_f16_e32 v1, v5
	.loc	1 46 81                         ; geglu_aot.py:46:81
	v_cndmask_b32_e64 v3, 1.0, 2.0, vcc
	v_fma_f32 v4, v2, v3, 1.0
	v_rcp_f32_e32 v39, v4
	v_add_f32_e32 v38, -1.0, v4
	v_fma_f32 v41, v2, v3, -v38
	v_fma_f32 v3, v2, v3, -1.0
	v_mul_f32_e32 v38, v3, v39
	v_mul_f32_e32 v40, v4, v38
	v_fma_f32 v42, v38, v4, -v40
	v_fmac_f32_e32 v42, v38, v41
	v_fma_f32 v2, v4, v38, v42
	v_sub_f32_e32 v41, v3, v2
	v_pk_add_f32 v[44:45], v[2:3], v[40:41] neg_lo:[0,1] neg_hi:[0,1]
	v_mov_b32_e32 v43, v2
	v_pk_add_f32 v[42:43], v[44:45], v[42:43] neg_lo:[0,1] neg_hi:[0,1]
	v_mov_b32_e32 v55, 0x3ecccdef
	v_add_f32_e32 v2, v42, v43
	v_add_f32_e32 v2, v41, v2
	v_fmac_f32_e32 v38, v39, v2
	v_fma_f32 v3, -v3, v39, v38
	v_fma_f32 v4, v39, v2, -v3
	v_mul_f32_e32 v3, v38, v38
	v_add_f32_e32 v2, v4, v4
	v_fma_f32 v3, v38, v38, -v3
	v_fmac_f32_e32 v3, v38, v2
	v_fma_f32 v2, v38, v38, v3
	v_fma_f32 v39, -v38, v38, v2
	v_sub_f32_e32 v46, v3, v39
	v_fmamk_f32 v3, v2, 0x3e76c4e1, v54
	v_fmaak_f32 v3, v2, v3, 0x3ecccdef
	v_mul_f32_e32 v39, v2, v3
	v_fma_f32 v39, v2, v3, -v39
	v_fmac_f32_e32 v39, v46, v3
	v_fma_f32 v40, v2, v3, v39
	v_fma_f32 v3, -v2, v3, v40
	v_add_f32_e32 v41, 0x3f2aaaaa, v40
	v_sub_f32_e32 v3, v39, v3
	v_add_f32_e32 v39, 0x31739010, v3
	v_add_f32_e32 v3, 0xbf2aaaaa, v41
	v_sub_f32_e32 v3, v40, v3
	v_pk_mul_f32 v[42:43], v[38:39], v[2:3]
	v_pk_add_f32 v[44:45], v[38:39], v[2:3]
	v_fma_f32 v40, v2, v38, -v42
	v_fmac_f32_e32 v40, v2, v4
	v_mov_b32_e32 v43, v45
	v_fmac_f32_e32 v40, v46, v38
	v_pk_add_f32 v[42:43], v[42:43], v[40:41]
	s_mov_b32 s6, 0x42b17218
	v_pk_fma_f32 v[2:3], v[38:39], v[2:3], v[42:43] neg_lo:[1,0,0] neg_hi:[1,0,0]
	v_mul_f32_e32 v39, v42, v43
	v_sub_f32_e32 v3, v41, v43
	v_sub_f32_e32 v2, v40, v2
	v_add_f32_e32 v3, v45, v3
	v_fma_f32 v40, v42, v43, -v39
	v_fmac_f32_e32 v40, v42, v3
	v_fmac_f32_e32 v40, v2, v43
	v_cvt_f64_f32_e64 v[2:3], |v0|
	v_frexp_exp_i32_f64_e32 v2, v[2:3]
	v_subbrev_co_u32_e32 v2, vcc, 0, v2, vcc
	v_cvt_f32_i32_e32 v2, v2
	v_fma_f32 v39, v42, v43, v40
	v_fma_f32 v3, -v42, v43, v39
	v_sub_f32_e32 v44, v40, v3
	v_mov_b32_e32 v3, v38
	v_pk_mul_f32 v[40:41], v[2:3], s[0:1]
	v_fmac_f32_e32 v44, 2.0, v4
	v_fma_f32 v38, v2, s0, -v40
	v_fmac_f32_e32 v38, 0xb102e308, v2
	v_pk_fma_f32 v[42:43], v[2:3], s[0:1], v[38:39]
	s_mov_b32 s7, 0x3fb8aa3b
	v_pk_fma_f32 v[2:3], v[2:3], s[0:1], v[42:43] neg_lo:[1,0,0] neg_hi:[1,0,0]
	s_mov_b32 s8, 0xc2ce8ed0
	v_sub_f32_e32 v3, v39, v3
	v_add_f32_e32 v41, v44, v3
	v_pk_add_f32 v[44:45], v[42:43], v[40:41]
	v_mov_b32_e32 v39, v42
	v_mov_b32_e32 v3, v45
	v_pk_add_f32 v[46:47], v[38:39], v[2:3] neg_lo:[0,1] neg_hi:[0,1]
	v_pk_add_f32 v[2:3], v[38:39], v[2:3]
	v_mov_b32_e32 v40, v41
	v_pk_add_f32 v[38:39], v[2:3], v[42:43] op_sel:[1,0] op_sel_hi:[0,1] neg_lo:[0,1] neg_hi:[0,1]
	v_pk_add_f32 v[48:49], v[44:45], v[38:39] op_sel_hi:[1,0] neg_lo:[0,1] neg_hi:[0,1]
	v_mov_b32_e32 v2, v45
	v_pk_mov_b32 v[38:39], v[42:43], v[38:39] op_sel:[1,0]
	v_mov_b32_e32 v41, v42
	v_pk_add_f32 v[38:39], v[2:3], v[38:39] neg_lo:[0,1] neg_hi:[0,1]
	v_frexp_mant_f32_e64 v2, |v1|
	v_cmp_gt_f32_e32 vcc, s2, v2
	v_pk_add_f32 v[38:39], v[40:41], v[38:39] neg_lo:[0,1] neg_hi:[0,1]
	v_mov_b32_e32 v48, v46
	v_cndmask_b32_e64 v4, 1.0, 2.0, vcc
	v_pk_add_f32 v[40:41], v[48:49], v[38:39]
	v_fma_f32 v39, v2, v4, 1.0
	v_rcp_f32_e32 v45, v39
	v_fma_f32 v43, v2, v4, -1.0
	v_add_f32_e32 v42, -1.0, v39
	v_fma_f32 v42, v2, v4, -v42
	v_mul_f32_e32 v44, v43, v45
	v_mul_f32_e32 v48, v39, v44
	v_fma_f32 v50, v44, v39, -v48
	v_fmac_f32_e32 v50, v44, v42
	v_fma_f32 v42, v39, v44, v50
	v_sub_f32_e32 v49, v43, v42
	v_pk_add_f32 v[52:53], v[42:43], v[48:49] neg_lo:[0,1] neg_hi:[0,1]
	v_mov_b32_e32 v51, v42
	v_pk_add_f32 v[50:51], v[52:53], v[50:51] neg_lo:[0,1] neg_hi:[0,1]
	v_mov_b32_e32 v47, v3
	v_add_f32_e32 v2, v50, v51
	v_add_f32_e32 v2, v49, v2
	v_fmac_f32_e32 v44, v45, v2
	v_fma_f32 v4, -v43, v45, v44
	v_fma_f32 v2, v45, v2, -v4
	v_mul_f32_e32 v39, v44, v44
	v_add_f32_e32 v4, v2, v2
	v_fma_f32 v39, v44, v44, -v39
	v_fmac_f32_e32 v39, v44, v4
	v_fma_f32 v42, v44, v44, v39
	v_fmac_f32_e32 v54, 0x3e76c4e1, v42
	v_fma_f32 v4, -v44, v44, v42
	v_fmac_f32_e32 v55, v42, v54
	v_sub_f32_e32 v4, v39, v4
	v_mul_f32_e32 v39, v42, v55
	v_fma_f32 v39, v42, v55, -v39
	v_fmac_f32_e32 v39, v4, v55
	v_fma_f32 v43, v42, v55, v39
	v_fma_f32 v45, -v42, v55, v43
	v_add_f32_e32 v49, 0x3f2aaaaa, v43
	v_sub_f32_e32 v39, v39, v45
	v_add_f32_e32 v45, 0x31739010, v39
	v_add_f32_e32 v39, 0xbf2aaaaa, v49
	v_sub_f32_e32 v43, v43, v39
	v_pk_mul_f32 v[50:51], v[44:45], v[42:43]
	v_pk_add_f32 v[52:53], v[44:45], v[42:43]
	v_fma_f32 v48, v42, v44, -v50
	v_fmac_f32_e32 v48, v42, v2
	v_mov_b32_e32 v51, v53
	v_fmac_f32_e32 v48, v4, v44
	v_pk_add_f32 v[50:51], v[50:51], v[48:49]
	s_mov_b32 s2, 0x7f800000
	v_pk_fma_f32 v[42:43], v[44:45], v[42:43], v[50:51] neg_lo:[1,0,0] neg_hi:[1,0,0]
	v_sub_f32_e32 v39, v49, v51
	v_sub_f32_e32 v4, v48, v42
	v_mul_f32_e32 v42, v50, v51
	v_add_f32_e32 v39, v53, v39
	v_fma_f32 v48, v50, v51, -v42
	v_fmac_f32_e32 v48, v50, v39
	v_cvt_f64_f32_e64 v[42:43], |v1|
	v_fmac_f32_e32 v48, v4, v51
	v_frexp_exp_i32_f64_e32 v4, v[42:43]
	v_subbrev_co_u32_e32 v4, vcc, 0, v4, vcc
	v_cvt_f32_i32_e32 v42, v4
	v_fma_f32 v45, v50, v51, v48
	v_fma_f32 v4, -v50, v51, v45
	v_mov_b32_e32 v43, v44
	v_sub_f32_e32 v4, v48, v4
	v_pk_mul_f32 v[48:49], v[42:43], s[0:1]
	v_fmac_f32_e32 v4, 2.0, v2
	v_fma_f32 v44, v42, s0, -v48
	v_fmac_f32_e32 v44, 0xb102e308, v42
	v_pk_fma_f32 v[50:51], v[42:43], s[0:1], v[44:45]
	.loc	1 46 50 is_stmt 0               ; geglu_aot.py:46:50
	v_mul_f32_e32 v58, 0x3f4c422a, v0
	.loc	1 46 81                         ; geglu_aot.py:46:81
	v_pk_fma_f32 v[42:43], v[42:43], s[0:1], v[50:51] neg_lo:[1,0,0] neg_hi:[1,0,0]
	s_nop 0
	v_sub_f32_e32 v2, v45, v43
	v_add_f32_e32 v49, v4, v2
	v_pk_add_f32 v[52:53], v[50:51], v[48:49]
	v_mov_b32_e32 v45, v50
	v_mov_b32_e32 v43, v53
	v_pk_add_f32 v[54:55], v[44:45], v[42:43] neg_lo:[0,1] neg_hi:[0,1]
	v_pk_add_f32 v[42:43], v[44:45], v[42:43]
	v_mov_b32_e32 v48, v49
	v_pk_add_f32 v[44:45], v[42:43], v[50:51] op_sel:[1,0] op_sel_hi:[0,1] neg_lo:[0,1] neg_hi:[0,1]
	v_pk_add_f32 v[56:57], v[52:53], v[44:45] op_sel_hi:[1,0] neg_lo:[0,1] neg_hi:[0,1]
	v_mov_b32_e32 v42, v53
	v_pk_mov_b32 v[44:45], v[50:51], v[44:45] op_sel:[1,0]
	v_mov_b32_e32 v49, v50
	v_pk_add_f32 v[44:45], v[42:43], v[44:45] neg_lo:[0,1] neg_hi:[0,1]
	v_mov_b32_e32 v56, v54
	v_pk_add_f32 v[44:45], v[48:49], v[44:45] neg_lo:[0,1] neg_hi:[0,1]
	v_mov_b32_e32 v51, v40
	v_pk_add_f32 v[48:49], v[56:57], v[44:45]
	v_mov_b32_e32 v53, v41
	v_mov_b32_e32 v50, v48
	;; [unrolled: 1-line block ×3, first 2 shown]
	v_pk_add_f32 v[52:53], v[50:51], v[52:53]
	v_mov_b32_e32 v2, v43
	v_pk_add_f32 v[2:3], v[2:3], v[52:53]
	v_mov_b32_e32 v55, v43
	v_mov_b32_e32 v41, v3
	;; [unrolled: 1-line block ×3, first 2 shown]
	v_pk_add_f32 v[40:41], v[40:41], v[46:47] neg_lo:[0,1] neg_hi:[0,1]
	v_pk_add_f32 v[42:43], v[48:49], v[54:55] neg_lo:[0,1] neg_hi:[0,1]
	v_mov_b32_e32 v39, v53
	v_mov_b32_e32 v48, v42
	v_mov_b32_e32 v49, v40
	v_mov_b32_e32 v45, v52
	v_pk_add_f32 v[38:39], v[38:39], v[40:41] neg_lo:[0,1] neg_hi:[0,1]
	v_pk_add_f32 v[40:41], v[50:51], v[48:49] neg_lo:[0,1] neg_hi:[0,1]
	v_mov_b32_e32 v55, v46
	v_pk_add_f32 v[42:43], v[44:45], v[42:43] neg_lo:[0,1] neg_hi:[0,1]
	v_pk_add_f32 v[40:41], v[54:55], v[40:41] neg_lo:[0,1] neg_hi:[0,1]
	v_mov_b32_e32 v44, v42
	v_mov_b32_e32 v45, v38
	v_pk_add_f32 v[40:41], v[44:45], v[40:41]
	v_mov_b32_e32 v38, v43
	v_pk_add_f32 v[38:39], v[40:41], v[38:39]
	;; [unrolled: 2-line block ×3, first 2 shown]
	s_nop 0
	v_pk_add_f32 v[2:3], v[40:41], v[2:3] neg_lo:[0,1] neg_hi:[0,1]
	v_mul_f32_e32 v43, 0, v41
	v_pk_add_f32 v[2:3], v[38:39], v[2:3] neg_lo:[0,1] neg_hi:[0,1]
	v_pk_add_f32 v[38:39], v[40:41], v[40:41]
	v_mov_b32_e32 v44, v41
	v_pk_add_f32 v[46:47], v[38:39], 0 neg_lo:[1,1] neg_hi:[1,1]
	v_mov_b32_e32 v45, v3
	v_mov_b32_e32 v42, v47
	v_pk_fma_f32 v[42:43], v[44:45], 2.0, v[42:43] op_sel_hi:[1,0,1]
	v_mul_f32_e32 v47, 0, v40
	v_mov_b32_e32 v44, v40
	v_mov_b32_e32 v45, v2
	v_pk_fma_f32 v[2:3], v[44:45], 2.0, v[46:47] op_sel_hi:[1,0,1]
	v_mov_b32_e32 v45, v42
	v_mov_b32_e32 v44, v2
	;; [unrolled: 1-line block ×3, first 2 shown]
	v_pk_add_f32 v[2:3], v[44:45], v[42:43]
	v_cmp_class_f32_e32 vcc, v39, v4
	v_pk_fma_f32 v[42:43], v[40:41], 2.0, v[2:3] op_sel_hi:[1,0,1]
	s_nop 0
	v_cndmask_b32_e32 v39, v43, v39, vcc
	v_cmp_class_f32_e32 vcc, v38, v4
	v_pk_fma_f32 v[40:41], v[40:41], 2.0, v[42:43] op_sel_hi:[1,0,1] neg_lo:[1,0,0] neg_hi:[1,0,0]
	s_nop 0
	v_cndmask_b32_e32 v4, v42, v38, vcc
	v_mov_b32_e32 v38, 0x37000000
	v_cmp_eq_f32_e32 vcc, s6, v39
	v_pk_add_f32 v[2:3], v[2:3], v[40:41] neg_lo:[0,1] neg_hi:[0,1]
	s_nop 0
	v_cndmask_b32_e32 v38, 0, v38, vcc
	v_sub_f32_e32 v40, v39, v38
	v_mul_f32_e32 v41, 0x3fb8aa3b, v40
	v_fma_f32 v42, v40, s7, -v41
	v_rndne_f32_e32 v41, v41
	v_fmac_f32_e32 v42, 0x32a5705f, v40
	v_fma_f32 v43, v40, s7, -v41
	v_add_f32_e32 v42, v43, v42
	v_exp_f32_e32 v42, v42
	v_cvt_i32_f32_e32 v41, v41
	v_cmp_neq_f32_e64 vcc, |v39|, s2
	v_cmp_ngt_f32_e64 s[0:1], s8, v40
	s_nop 0
	v_cndmask_b32_e32 v3, 0, v3, vcc
	v_add_f32_e32 v38, v38, v3
	v_ldexp_f32 v3, v42, v41
	v_cndmask_b32_e64 v39, 0, v3, s[0:1]
	v_mov_b32_e32 v3, 0x7f800000
	v_cmp_nlt_f32_e64 s[0:1], s6, v40
	v_cmp_eq_f32_e32 vcc, s6, v4
	s_nop 0
	v_cndmask_b32_e64 v39, v3, v39, s[0:1]
	s_movk_i32 s0, 0x204
	v_fma_f32 v38, v39, v38, v39
	v_cmp_class_f32_e64 s[0:1], v39, s0
	s_nop 1
	v_cndmask_b32_e64 v38, v38, v39, s[0:1]
	s_mov_b32 s0, 0x3d372713
	.loc	1 46 61                         ; geglu_aot.py:46:61
	v_fma_f32 v38, |v38|, s0, 1.0
	.loc	1 46 81                         ; geglu_aot.py:46:81
	v_cmp_neq_f32_e64 s[0:1], |v0|, s2
                                        ; implicit-def: $vgpr39
	s_nop 1
	v_cndmask_b32_e64 v38, v3, v38, s[0:1]
	v_cmp_neq_f16_e64 s[0:1], 0, v6
	s_nop 1
	v_cndmask_b32_e64 v6, 1.0, v38, s[0:1]
	.loc	1 46 57                         ; geglu_aot.py:46:57
	v_mul_f32_e32 v38, v58, v6
	s_mov_b32 s0, 0x3f200000
	.loc	1 46 37                         ; geglu_aot.py:46:37
	v_cmp_nlt_f32_e64 s[0:1], |v38|, s0
	s_and_saveexec_b64 s[2:3], s[0:1]
	s_xor_b64 s[2:3], exec, s[2:3]
	s_cbranch_execz .LBB0_66
; %bb.65:
	v_add_f32_e64 v6, |v38|, |v38|
	v_mul_f32_e32 v39, 0x3fb8aa3b, v6
	v_fma_f32 v40, v6, s7, -v39
	v_rndne_f32_e32 v39, v39
	v_fmac_f32_e32 v40, 0x32a5705f, v6
	v_fma_f32 v41, v6, s7, -v39
	v_add_f32_e32 v40, v41, v40
	v_cvt_i32_f32_e32 v39, v39
	v_exp_f32_e32 v40, v40
	v_cmp_ngt_f32_e64 s[0:1], s8, v6
	v_ldexp_f32 v39, v40, v39
	s_nop 0
	v_cndmask_b32_e64 v39, 0, v39, s[0:1]
	v_cmp_nlt_f32_e64 s[0:1], s6, v6
	s_nop 1
	v_cndmask_b32_e64 v3, v3, v39, s[0:1]
	v_add_f32_e32 v3, 1.0, v3
	v_rcp_f32_e32 v3, v3
	s_nop 0
	v_fma_f32 v39, v3, -2.0, 1.0
.LBB0_66:                               ; %Flow15
	.loc	1 0 37                          ; geglu_aot.py:0:37
	s_or_saveexec_b64 s[0:1], s[2:3]
	.loc	1 46 0                          ; geglu_aot.py:46
	v_and_b32_e32 v3, 0x7fffffff, v1
	s_xor_b64 exec, exec, s[0:1]
; %bb.67:
	.loc	1 46 37                         ; geglu_aot.py:46:37
	v_mul_f32_e32 v6, v38, v38
	v_mov_b32_e32 v39, 0x3ca908c9
	v_fmac_f32_e32 v39, 0xbbbac73d, v6
	v_fmaak_f32 v39, v6, v39, 0xbd5c1c4e
	v_fmaak_f32 v39, v6, v39, 0x3e088382
	;; [unrolled: 1-line block ×3, first 2 shown]
	v_mul_f32_e64 v39, |v38|, v39
	v_fma_f32 v39, v6, v39, |v38|
; %bb.68:                               ; %__ocml_tanh_f32.exit
	.loc	1 0 37                          ; geglu_aot.py:0:37
	s_or_b64 exec, exec, s[0:1]
	.loc	1 46 81                         ; geglu_aot.py:46:81
	v_mov_b32_e32 v40, 0x37000000
	v_cndmask_b32_e32 v40, 0, v40, vcc
	v_sub_f32_e32 v41, v4, v40
	s_mov_b32 s2, 0x3fb8aa3b
	v_mul_f32_e32 v42, 0x3fb8aa3b, v41
	v_fma_f32 v43, v41, s2, -v42
	v_rndne_f32_e32 v42, v42
	v_fmac_f32_e32 v43, 0x32a5705f, v41
	v_fma_f32 v44, v41, s2, -v42
	v_add_f32_e32 v43, v44, v43
	v_exp_f32_e32 v43, v43
	v_cvt_i32_f32_e32 v42, v42
	s_mov_b32 s0, 0x7f800000
	v_cmp_neq_f32_e64 vcc, |v4|, s0
	s_mov_b32 s3, 0xc2ce8ed0
	s_movk_i32 s1, 0x204
	v_cndmask_b32_e32 v2, 0, v2, vcc
	v_add_f32_e32 v4, v40, v2
	v_ldexp_f32 v2, v43, v42
	v_cmp_ngt_f32_e32 vcc, s3, v41
	.loc	1 46 50                         ; geglu_aot.py:46:50
	v_mul_f32_e32 v6, 0x3f4c422a, v1
	.loc	1 46 81                         ; geglu_aot.py:46:81
	s_nop 0
	v_cndmask_b32_e32 v40, 0, v2, vcc
	v_mov_b32_e32 v2, 0x7f800000
	v_cmp_nlt_f32_e32 vcc, s6, v41
                                        ; implicit-def: $vgpr41
	s_nop 1
	v_cndmask_b32_e32 v40, v2, v40, vcc
	v_fma_f32 v4, v40, v4, v40
	v_cmp_class_f32_e64 vcc, v40, s1
	s_mov_b32 s1, 0x3d372713
	s_nop 0
	v_cndmask_b32_e32 v4, v4, v40, vcc
	.loc	1 46 61                         ; geglu_aot.py:46:61
	v_fma_f32 v4, |v4|, s1, 1.0
	.loc	1 46 81                         ; geglu_aot.py:46:81
	v_cmp_neq_f32_e32 vcc, s0, v3
	s_mov_b32 s0, 0x3f200000
	s_nop 0
	v_cndmask_b32_e32 v3, v2, v4, vcc
	v_cmp_neq_f16_e32 vcc, 0, v5
	s_nop 1
	v_cndmask_b32_e32 v3, 1.0, v3, vcc
	.loc	1 46 57                         ; geglu_aot.py:46:57
	v_mul_f32_e32 v40, v6, v3
	.loc	1 46 37                         ; geglu_aot.py:46:37
	v_cmp_nlt_f32_e64 s[0:1], |v40|, s0
	s_and_saveexec_b64 s[8:9], s[0:1]
	s_xor_b64 s[0:1], exec, s[8:9]
	s_cbranch_execz .LBB0_70
; %bb.69:
	v_add_f32_e64 v3, |v40|, |v40|
	v_mul_f32_e32 v4, 0x3fb8aa3b, v3
	v_fma_f32 v5, v3, s2, -v4
	v_rndne_f32_e32 v4, v4
	v_fmac_f32_e32 v5, 0x32a5705f, v3
	v_fma_f32 v6, v3, s2, -v4
	v_add_f32_e32 v5, v6, v5
	v_cvt_i32_f32_e32 v4, v4
	v_exp_f32_e32 v5, v5
	v_cmp_ngt_f32_e32 vcc, s3, v3
	v_ldexp_f32 v4, v5, v4
	s_nop 0
	v_cndmask_b32_e32 v4, 0, v4, vcc
	v_cmp_nlt_f32_e32 vcc, s6, v3
	s_nop 1
	v_cndmask_b32_e32 v2, v2, v4, vcc
	v_add_f32_e32 v2, 1.0, v2
	v_rcp_f32_e32 v2, v2
	s_nop 0
	v_fma_f32 v41, v2, -2.0, 1.0
.LBB0_70:                               ; %Flow14
	.loc	1 0 37                          ; geglu_aot.py:0:37
	s_andn2_saveexec_b64 s[0:1], s[0:1]
; %bb.71:
	.loc	1 46 37 is_stmt 1               ; geglu_aot.py:46:37
	v_mul_f32_e32 v2, v40, v40
	v_mov_b32_e32 v3, 0x3ca908c9
	v_fmac_f32_e32 v3, 0xbbbac73d, v2
	v_fmaak_f32 v3, v2, v3, 0xbd5c1c4e
	v_fmaak_f32 v3, v2, v3, 0x3e088382
	;; [unrolled: 1-line block ×3, first 2 shown]
	v_mul_f32_e64 v3, |v40|, v3
	v_fma_f32 v41, v2, v3, |v40|
; %bb.72:                               ; %__ocml_tanh_f32.exit1
	.loc	1 0 37 is_stmt 0                ; geglu_aot.py:0:37
	s_or_b64 exec, exec, s[0:1]
	.loc	1 43 56 is_stmt 1               ; geglu_aot.py:43:56
	v_cvt_f32_f16_e32 v2, v8
	s_mov_b32 s2, 0x3f2aaaab
	v_mov_b32_e32 v58, 0x3e91f4c4
	s_mov_b32 s0, 0x3f317218
	.loc	1 46 81                         ; geglu_aot.py:46:81
	v_frexp_mant_f32_e64 v4, |v2|
	v_cmp_gt_f32_e32 vcc, s2, v4
	s_mov_b32 s1, 2.0
	.loc	1 43 56                         ; geglu_aot.py:43:56
	v_cvt_f32_f16_e32 v3, v7
	.loc	1 46 81                         ; geglu_aot.py:46:81
	v_cndmask_b32_e64 v5, 1.0, 2.0, vcc
	v_fma_f32 v6, v4, v5, 1.0
	v_rcp_f32_e32 v43, v6
	v_add_f32_e32 v42, -1.0, v6
	v_fma_f32 v45, v4, v5, -v42
	v_fma_f32 v5, v4, v5, -1.0
	v_mul_f32_e32 v42, v5, v43
	v_mul_f32_e32 v44, v6, v42
	v_fma_f32 v46, v42, v6, -v44
	v_fmac_f32_e32 v46, v42, v45
	v_fma_f32 v4, v6, v42, v46
	v_sub_f32_e32 v45, v5, v4
	v_pk_add_f32 v[48:49], v[4:5], v[44:45] neg_lo:[0,1] neg_hi:[0,1]
	v_mov_b32_e32 v47, v4
	v_pk_add_f32 v[46:47], v[48:49], v[46:47] neg_lo:[0,1] neg_hi:[0,1]
	v_mov_b32_e32 v59, 0x3ecccdef
	v_add_f32_e32 v4, v46, v47
	v_add_f32_e32 v4, v45, v4
	v_fmac_f32_e32 v42, v43, v4
	v_fma_f32 v5, -v5, v43, v42
	v_fma_f32 v6, v43, v4, -v5
	v_mul_f32_e32 v5, v42, v42
	v_add_f32_e32 v4, v6, v6
	v_fma_f32 v5, v42, v42, -v5
	v_fmac_f32_e32 v5, v42, v4
	v_fma_f32 v4, v42, v42, v5
	v_fma_f32 v43, -v42, v42, v4
	v_sub_f32_e32 v50, v5, v43
	v_fmamk_f32 v5, v4, 0x3e76c4e1, v58
	v_fmaak_f32 v5, v4, v5, 0x3ecccdef
	v_mul_f32_e32 v43, v4, v5
	v_fma_f32 v43, v4, v5, -v43
	v_fmac_f32_e32 v43, v50, v5
	v_fma_f32 v44, v4, v5, v43
	v_fma_f32 v5, -v4, v5, v44
	v_add_f32_e32 v45, 0x3f2aaaaa, v44
	v_sub_f32_e32 v5, v43, v5
	v_add_f32_e32 v43, 0x31739010, v5
	v_add_f32_e32 v5, 0xbf2aaaaa, v45
	v_sub_f32_e32 v5, v44, v5
	v_pk_mul_f32 v[46:47], v[42:43], v[4:5]
	v_pk_add_f32 v[48:49], v[42:43], v[4:5]
	v_fma_f32 v44, v4, v42, -v46
	v_fmac_f32_e32 v44, v4, v6
	v_mov_b32_e32 v47, v49
	v_fmac_f32_e32 v44, v50, v42
	v_pk_add_f32 v[46:47], v[46:47], v[44:45]
	s_mov_b32 s8, 0xc2ce8ed0
	v_pk_fma_f32 v[4:5], v[42:43], v[4:5], v[46:47] neg_lo:[1,0,0] neg_hi:[1,0,0]
	v_mul_f32_e32 v43, v46, v47
	v_sub_f32_e32 v5, v45, v47
	v_sub_f32_e32 v4, v44, v4
	v_add_f32_e32 v5, v49, v5
	v_fma_f32 v44, v46, v47, -v43
	v_fmac_f32_e32 v44, v46, v5
	v_fmac_f32_e32 v44, v4, v47
	v_cvt_f64_f32_e64 v[4:5], |v2|
	v_frexp_exp_i32_f64_e32 v4, v[4:5]
	v_subbrev_co_u32_e32 v4, vcc, 0, v4, vcc
	v_cvt_f32_i32_e32 v4, v4
	v_fma_f32 v43, v46, v47, v44
	v_fma_f32 v5, -v46, v47, v43
	v_sub_f32_e32 v48, v44, v5
	v_mov_b32_e32 v5, v42
	v_pk_mul_f32 v[44:45], v[4:5], s[0:1]
	v_fmac_f32_e32 v48, 2.0, v6
	v_fma_f32 v42, v4, s0, -v44
	v_fmac_f32_e32 v42, 0xb102e308, v4
	v_pk_fma_f32 v[46:47], v[4:5], s[0:1], v[42:43]
	.loc	1 46 50 is_stmt 0               ; geglu_aot.py:46:50
	v_mul_f32_e32 v62, 0x3f4c422a, v2
	.loc	1 46 81                         ; geglu_aot.py:46:81
	v_pk_fma_f32 v[4:5], v[4:5], s[0:1], v[46:47] neg_lo:[1,0,0] neg_hi:[1,0,0]
	s_nop 0
	v_sub_f32_e32 v5, v43, v5
	v_add_f32_e32 v45, v48, v5
	v_pk_add_f32 v[48:49], v[46:47], v[44:45]
	v_mov_b32_e32 v43, v46
	v_mov_b32_e32 v5, v49
	v_pk_add_f32 v[50:51], v[42:43], v[4:5] neg_lo:[0,1] neg_hi:[0,1]
	v_pk_add_f32 v[4:5], v[42:43], v[4:5]
	v_mov_b32_e32 v44, v45
	v_pk_add_f32 v[42:43], v[4:5], v[46:47] op_sel:[1,0] op_sel_hi:[0,1] neg_lo:[0,1] neg_hi:[0,1]
	v_pk_add_f32 v[52:53], v[48:49], v[42:43] op_sel_hi:[1,0] neg_lo:[0,1] neg_hi:[0,1]
	v_mov_b32_e32 v4, v49
	v_pk_mov_b32 v[42:43], v[46:47], v[42:43] op_sel:[1,0]
	v_mov_b32_e32 v45, v46
	v_pk_add_f32 v[42:43], v[4:5], v[42:43] neg_lo:[0,1] neg_hi:[0,1]
	v_frexp_mant_f32_e64 v4, |v3|
	v_cmp_gt_f32_e32 vcc, s2, v4
	v_pk_add_f32 v[42:43], v[44:45], v[42:43] neg_lo:[0,1] neg_hi:[0,1]
	v_mov_b32_e32 v52, v50
	v_cndmask_b32_e64 v6, 1.0, 2.0, vcc
	v_pk_add_f32 v[44:45], v[52:53], v[42:43]
	v_fma_f32 v43, v4, v6, 1.0
	v_rcp_f32_e32 v49, v43
	v_fma_f32 v47, v4, v6, -1.0
	v_add_f32_e32 v46, -1.0, v43
	v_fma_f32 v46, v4, v6, -v46
	v_mul_f32_e32 v48, v47, v49
	v_mul_f32_e32 v52, v43, v48
	v_fma_f32 v54, v48, v43, -v52
	v_fmac_f32_e32 v54, v48, v46
	v_fma_f32 v46, v43, v48, v54
	v_sub_f32_e32 v53, v47, v46
	v_pk_add_f32 v[56:57], v[46:47], v[52:53] neg_lo:[0,1] neg_hi:[0,1]
	v_mov_b32_e32 v55, v46
	v_pk_add_f32 v[54:55], v[56:57], v[54:55] neg_lo:[0,1] neg_hi:[0,1]
	v_mov_b32_e32 v51, v5
	v_add_f32_e32 v4, v54, v55
	v_add_f32_e32 v4, v53, v4
	v_fmac_f32_e32 v48, v49, v4
	v_fma_f32 v6, -v47, v49, v48
	v_fma_f32 v4, v49, v4, -v6
	v_mul_f32_e32 v43, v48, v48
	v_add_f32_e32 v6, v4, v4
	v_fma_f32 v43, v48, v48, -v43
	v_fmac_f32_e32 v43, v48, v6
	v_fma_f32 v46, v48, v48, v43
	v_fmac_f32_e32 v58, 0x3e76c4e1, v46
	v_fma_f32 v6, -v48, v48, v46
	v_fmac_f32_e32 v59, v46, v58
	v_sub_f32_e32 v6, v43, v6
	v_mul_f32_e32 v43, v46, v59
	v_fma_f32 v43, v46, v59, -v43
	v_fmac_f32_e32 v43, v6, v59
	v_fma_f32 v47, v46, v59, v43
	v_fma_f32 v49, -v46, v59, v47
	v_add_f32_e32 v53, 0x3f2aaaaa, v47
	v_sub_f32_e32 v43, v43, v49
	v_add_f32_e32 v49, 0x31739010, v43
	v_add_f32_e32 v43, 0xbf2aaaaa, v53
	v_sub_f32_e32 v47, v47, v43
	v_pk_mul_f32 v[54:55], v[48:49], v[46:47]
	v_pk_add_f32 v[56:57], v[48:49], v[46:47]
	v_fma_f32 v52, v46, v48, -v54
	v_fmac_f32_e32 v52, v46, v4
	v_mov_b32_e32 v55, v57
	v_fmac_f32_e32 v52, v6, v48
	v_pk_add_f32 v[54:55], v[54:55], v[52:53]
	s_mov_b32 s2, 0x7f800000
	v_pk_fma_f32 v[46:47], v[48:49], v[46:47], v[54:55] neg_lo:[1,0,0] neg_hi:[1,0,0]
	v_sub_f32_e32 v43, v53, v55
	v_sub_f32_e32 v6, v52, v46
	v_mul_f32_e32 v46, v54, v55
	v_add_f32_e32 v43, v57, v43
	v_fma_f32 v52, v54, v55, -v46
	v_fmac_f32_e32 v52, v54, v43
	v_cvt_f64_f32_e64 v[46:47], |v3|
	v_fmac_f32_e32 v52, v6, v55
	v_frexp_exp_i32_f64_e32 v6, v[46:47]
	v_subbrev_co_u32_e32 v6, vcc, 0, v6, vcc
	v_cvt_f32_i32_e32 v46, v6
	v_fma_f32 v49, v54, v55, v52
	v_fma_f32 v6, -v54, v55, v49
	v_mov_b32_e32 v47, v48
	v_sub_f32_e32 v6, v52, v6
	v_pk_mul_f32 v[52:53], v[46:47], s[0:1]
	v_fmac_f32_e32 v6, 2.0, v4
	v_fma_f32 v48, v46, s0, -v52
	v_fmac_f32_e32 v48, 0xb102e308, v46
	v_pk_fma_f32 v[54:55], v[46:47], s[0:1], v[48:49]
	s_nop 0
	v_pk_fma_f32 v[46:47], v[46:47], s[0:1], v[54:55] neg_lo:[1,0,0] neg_hi:[1,0,0]
	s_nop 0
	v_sub_f32_e32 v4, v49, v47
	v_add_f32_e32 v53, v6, v4
	v_pk_add_f32 v[56:57], v[54:55], v[52:53]
	v_mov_b32_e32 v49, v54
	v_mov_b32_e32 v47, v57
	v_pk_add_f32 v[58:59], v[48:49], v[46:47] neg_lo:[0,1] neg_hi:[0,1]
	v_pk_add_f32 v[46:47], v[48:49], v[46:47]
	v_mov_b32_e32 v52, v53
	v_pk_add_f32 v[48:49], v[46:47], v[54:55] op_sel:[1,0] op_sel_hi:[0,1] neg_lo:[0,1] neg_hi:[0,1]
	v_pk_add_f32 v[60:61], v[56:57], v[48:49] op_sel_hi:[1,0] neg_lo:[0,1] neg_hi:[0,1]
	v_mov_b32_e32 v46, v57
	v_pk_mov_b32 v[48:49], v[54:55], v[48:49] op_sel:[1,0]
	v_mov_b32_e32 v53, v54
	v_pk_add_f32 v[48:49], v[46:47], v[48:49] neg_lo:[0,1] neg_hi:[0,1]
	v_mov_b32_e32 v60, v58
	v_pk_add_f32 v[48:49], v[52:53], v[48:49] neg_lo:[0,1] neg_hi:[0,1]
	v_mov_b32_e32 v55, v44
	v_pk_add_f32 v[52:53], v[60:61], v[48:49]
	v_mov_b32_e32 v57, v45
	v_mov_b32_e32 v54, v52
	;; [unrolled: 1-line block ×3, first 2 shown]
	v_pk_add_f32 v[56:57], v[54:55], v[56:57]
	v_mov_b32_e32 v4, v47
	v_pk_add_f32 v[4:5], v[4:5], v[56:57]
	v_mov_b32_e32 v59, v47
	v_mov_b32_e32 v45, v5
	;; [unrolled: 1-line block ×3, first 2 shown]
	v_pk_add_f32 v[44:45], v[44:45], v[50:51] neg_lo:[0,1] neg_hi:[0,1]
	v_pk_add_f32 v[46:47], v[52:53], v[58:59] neg_lo:[0,1] neg_hi:[0,1]
	v_mov_b32_e32 v43, v57
	v_mov_b32_e32 v52, v46
	;; [unrolled: 1-line block ×4, first 2 shown]
	v_pk_add_f32 v[42:43], v[42:43], v[44:45] neg_lo:[0,1] neg_hi:[0,1]
	v_pk_add_f32 v[44:45], v[54:55], v[52:53] neg_lo:[0,1] neg_hi:[0,1]
	v_mov_b32_e32 v59, v50
	v_pk_add_f32 v[46:47], v[48:49], v[46:47] neg_lo:[0,1] neg_hi:[0,1]
	v_pk_add_f32 v[44:45], v[58:59], v[44:45] neg_lo:[0,1] neg_hi:[0,1]
	v_mov_b32_e32 v48, v46
	v_mov_b32_e32 v49, v42
	v_pk_add_f32 v[44:45], v[48:49], v[44:45]
	v_mov_b32_e32 v42, v47
	v_pk_add_f32 v[42:43], v[44:45], v[42:43]
	;; [unrolled: 2-line block ×3, first 2 shown]
	s_nop 0
	v_pk_add_f32 v[4:5], v[44:45], v[4:5] neg_lo:[0,1] neg_hi:[0,1]
	v_mul_f32_e32 v47, 0, v45
	v_pk_add_f32 v[4:5], v[42:43], v[4:5] neg_lo:[0,1] neg_hi:[0,1]
	v_pk_add_f32 v[42:43], v[44:45], v[44:45]
	v_mov_b32_e32 v48, v45
	v_pk_add_f32 v[50:51], v[42:43], 0 neg_lo:[1,1] neg_hi:[1,1]
	v_mov_b32_e32 v49, v5
	v_mov_b32_e32 v46, v51
	v_pk_fma_f32 v[46:47], v[48:49], 2.0, v[46:47] op_sel_hi:[1,0,1]
	v_mul_f32_e32 v51, 0, v44
	v_mov_b32_e32 v48, v44
	v_mov_b32_e32 v49, v4
	v_pk_fma_f32 v[4:5], v[48:49], 2.0, v[50:51] op_sel_hi:[1,0,1]
	v_mov_b32_e32 v49, v46
	v_mov_b32_e32 v48, v4
	;; [unrolled: 1-line block ×3, first 2 shown]
	v_pk_add_f32 v[4:5], v[48:49], v[46:47]
	v_cmp_class_f32_e32 vcc, v43, v6
	v_pk_fma_f32 v[46:47], v[44:45], 2.0, v[4:5] op_sel_hi:[1,0,1]
	s_nop 0
	v_cndmask_b32_e32 v43, v47, v43, vcc
	v_cmp_class_f32_e32 vcc, v42, v6
	v_pk_fma_f32 v[44:45], v[44:45], 2.0, v[46:47] op_sel_hi:[1,0,1] neg_lo:[1,0,0] neg_hi:[1,0,0]
	s_nop 0
	v_cndmask_b32_e32 v6, v46, v42, vcc
	v_mov_b32_e32 v42, 0x37000000
	v_cmp_eq_f32_e32 vcc, s6, v43
	v_pk_add_f32 v[4:5], v[4:5], v[44:45] neg_lo:[0,1] neg_hi:[0,1]
	s_nop 0
	v_cndmask_b32_e32 v42, 0, v42, vcc
	v_sub_f32_e32 v44, v43, v42
	v_mul_f32_e32 v45, 0x3fb8aa3b, v44
	v_fma_f32 v46, v44, s7, -v45
	v_rndne_f32_e32 v45, v45
	v_fmac_f32_e32 v46, 0x32a5705f, v44
	v_fma_f32 v47, v44, s7, -v45
	v_add_f32_e32 v46, v47, v46
	v_exp_f32_e32 v46, v46
	v_cvt_i32_f32_e32 v45, v45
	v_cmp_neq_f32_e64 vcc, |v43|, s2
	v_cmp_ngt_f32_e64 s[0:1], s8, v44
	s_nop 0
	v_cndmask_b32_e32 v5, 0, v5, vcc
	v_add_f32_e32 v42, v42, v5
	v_ldexp_f32 v5, v46, v45
	v_cndmask_b32_e64 v43, 0, v5, s[0:1]
	v_mov_b32_e32 v5, 0x7f800000
	v_cmp_nlt_f32_e64 s[0:1], s6, v44
	v_cmp_eq_f32_e32 vcc, s6, v6
	s_nop 0
	v_cndmask_b32_e64 v43, v5, v43, s[0:1]
	s_movk_i32 s0, 0x204
	v_fma_f32 v42, v43, v42, v43
	v_cmp_class_f32_e64 s[0:1], v43, s0
	s_nop 1
	v_cndmask_b32_e64 v42, v42, v43, s[0:1]
	s_mov_b32 s0, 0x3d372713
	.loc	1 46 61                         ; geglu_aot.py:46:61
	v_fma_f32 v42, |v42|, s0, 1.0
	.loc	1 46 81                         ; geglu_aot.py:46:81
	v_cmp_neq_f32_e64 s[0:1], |v2|, s2
                                        ; implicit-def: $vgpr43
	s_nop 1
	v_cndmask_b32_e64 v42, v5, v42, s[0:1]
	v_cmp_neq_f16_e64 s[0:1], 0, v8
	s_nop 1
	v_cndmask_b32_e64 v8, 1.0, v42, s[0:1]
	.loc	1 46 57                         ; geglu_aot.py:46:57
	v_mul_f32_e32 v42, v62, v8
	s_mov_b32 s0, 0x3f200000
	.loc	1 46 37                         ; geglu_aot.py:46:37
	v_cmp_nlt_f32_e64 s[0:1], |v42|, s0
	s_and_saveexec_b64 s[2:3], s[0:1]
	s_xor_b64 s[2:3], exec, s[2:3]
	s_cbranch_execz .LBB0_74
; %bb.73:
	v_add_f32_e64 v8, |v42|, |v42|
	v_mul_f32_e32 v43, 0x3fb8aa3b, v8
	v_fma_f32 v44, v8, s7, -v43
	v_rndne_f32_e32 v43, v43
	v_fmac_f32_e32 v44, 0x32a5705f, v8
	v_fma_f32 v45, v8, s7, -v43
	v_add_f32_e32 v44, v45, v44
	v_cvt_i32_f32_e32 v43, v43
	v_exp_f32_e32 v44, v44
	v_cmp_ngt_f32_e64 s[0:1], s8, v8
	v_ldexp_f32 v43, v44, v43
	s_nop 0
	v_cndmask_b32_e64 v43, 0, v43, s[0:1]
	v_cmp_nlt_f32_e64 s[0:1], s6, v8
	s_nop 1
	v_cndmask_b32_e64 v5, v5, v43, s[0:1]
	v_add_f32_e32 v5, 1.0, v5
	v_rcp_f32_e32 v5, v5
	s_nop 0
	v_fma_f32 v43, v5, -2.0, 1.0
.LBB0_74:                               ; %Flow13
	.loc	1 0 37                          ; geglu_aot.py:0:37
	s_or_saveexec_b64 s[0:1], s[2:3]
	.loc	1 46 0                          ; geglu_aot.py:46
	v_and_b32_e32 v5, 0x7fffffff, v3
	s_xor_b64 exec, exec, s[0:1]
; %bb.75:
	.loc	1 46 37                         ; geglu_aot.py:46:37
	v_mul_f32_e32 v8, v42, v42
	v_mov_b32_e32 v43, 0x3ca908c9
	v_fmac_f32_e32 v43, 0xbbbac73d, v8
	v_fmaak_f32 v43, v8, v43, 0xbd5c1c4e
	v_fmaak_f32 v43, v8, v43, 0x3e088382
	;; [unrolled: 1-line block ×3, first 2 shown]
	v_mul_f32_e64 v43, |v42|, v43
	v_fma_f32 v43, v8, v43, |v42|
; %bb.76:                               ; %__ocml_tanh_f32.exit2
	.loc	1 0 37                          ; geglu_aot.py:0:37
	s_or_b64 exec, exec, s[0:1]
	.loc	1 46 81                         ; geglu_aot.py:46:81
	v_mov_b32_e32 v44, 0x37000000
	v_cndmask_b32_e32 v44, 0, v44, vcc
	v_sub_f32_e32 v45, v6, v44
	s_mov_b32 s2, 0x3fb8aa3b
	v_mul_f32_e32 v46, 0x3fb8aa3b, v45
	v_fma_f32 v47, v45, s2, -v46
	v_rndne_f32_e32 v46, v46
	v_fmac_f32_e32 v47, 0x32a5705f, v45
	v_fma_f32 v48, v45, s2, -v46
	v_add_f32_e32 v47, v48, v47
	v_exp_f32_e32 v47, v47
	v_cvt_i32_f32_e32 v46, v46
	s_mov_b32 s0, 0x7f800000
	v_cmp_neq_f32_e64 vcc, |v6|, s0
	s_mov_b32 s3, 0xc2ce8ed0
	s_movk_i32 s1, 0x204
	v_cndmask_b32_e32 v4, 0, v4, vcc
	v_add_f32_e32 v6, v44, v4
	v_ldexp_f32 v4, v47, v46
	v_cmp_ngt_f32_e32 vcc, s3, v45
	.loc	1 46 50                         ; geglu_aot.py:46:50
	v_mul_f32_e32 v8, 0x3f4c422a, v3
	.loc	1 46 81                         ; geglu_aot.py:46:81
	s_nop 0
	v_cndmask_b32_e32 v44, 0, v4, vcc
	v_mov_b32_e32 v4, 0x7f800000
	v_cmp_nlt_f32_e32 vcc, s6, v45
                                        ; implicit-def: $vgpr45
	s_nop 1
	v_cndmask_b32_e32 v44, v4, v44, vcc
	v_fma_f32 v6, v44, v6, v44
	v_cmp_class_f32_e64 vcc, v44, s1
	s_mov_b32 s1, 0x3d372713
	s_nop 0
	v_cndmask_b32_e32 v6, v6, v44, vcc
	.loc	1 46 61                         ; geglu_aot.py:46:61
	v_fma_f32 v6, |v6|, s1, 1.0
	.loc	1 46 81                         ; geglu_aot.py:46:81
	v_cmp_neq_f32_e32 vcc, s0, v5
	s_mov_b32 s0, 0x3f200000
	s_nop 0
	v_cndmask_b32_e32 v5, v4, v6, vcc
	v_cmp_neq_f16_e32 vcc, 0, v7
	s_nop 1
	v_cndmask_b32_e32 v5, 1.0, v5, vcc
	.loc	1 46 57                         ; geglu_aot.py:46:57
	v_mul_f32_e32 v44, v8, v5
	.loc	1 46 37                         ; geglu_aot.py:46:37
	v_cmp_nlt_f32_e64 s[0:1], |v44|, s0
	s_and_saveexec_b64 s[8:9], s[0:1]
	s_xor_b64 s[0:1], exec, s[8:9]
	s_cbranch_execz .LBB0_78
; %bb.77:
	v_add_f32_e64 v5, |v44|, |v44|
	v_mul_f32_e32 v6, 0x3fb8aa3b, v5
	v_fma_f32 v7, v5, s2, -v6
	v_rndne_f32_e32 v6, v6
	v_fmac_f32_e32 v7, 0x32a5705f, v5
	v_fma_f32 v8, v5, s2, -v6
	v_add_f32_e32 v7, v8, v7
	v_cvt_i32_f32_e32 v6, v6
	v_exp_f32_e32 v7, v7
	v_cmp_ngt_f32_e32 vcc, s3, v5
	v_ldexp_f32 v6, v7, v6
	s_nop 0
	v_cndmask_b32_e32 v6, 0, v6, vcc
	v_cmp_nlt_f32_e32 vcc, s6, v5
	s_nop 1
	v_cndmask_b32_e32 v4, v4, v6, vcc
	v_add_f32_e32 v4, 1.0, v4
	v_rcp_f32_e32 v4, v4
	s_nop 0
	v_fma_f32 v45, v4, -2.0, 1.0
.LBB0_78:                               ; %Flow12
	.loc	1 0 37                          ; geglu_aot.py:0:37
	s_andn2_saveexec_b64 s[0:1], s[0:1]
; %bb.79:
	.loc	1 46 37 is_stmt 1               ; geglu_aot.py:46:37
	v_mul_f32_e32 v4, v44, v44
	v_mov_b32_e32 v5, 0x3ca908c9
	v_fmac_f32_e32 v5, 0xbbbac73d, v4
	v_fmaak_f32 v5, v4, v5, 0xbd5c1c4e
	v_fmaak_f32 v5, v4, v5, 0x3e088382
	;; [unrolled: 1-line block ×3, first 2 shown]
	v_mul_f32_e64 v5, |v44|, v5
	v_fma_f32 v45, v4, v5, |v44|
; %bb.80:                               ; %__ocml_tanh_f32.exit3
	.loc	1 0 37 is_stmt 0                ; geglu_aot.py:0:37
	s_or_b64 exec, exec, s[0:1]
	.loc	1 43 56 is_stmt 1               ; geglu_aot.py:43:56
	v_cvt_f32_f16_e32 v4, v10
	s_mov_b32 s2, 0x3f2aaaab
	v_mov_b32_e32 v62, 0x3e91f4c4
	s_mov_b32 s0, 0x3f317218
	.loc	1 46 81                         ; geglu_aot.py:46:81
	v_frexp_mant_f32_e64 v6, |v4|
	v_cmp_gt_f32_e32 vcc, s2, v6
	s_mov_b32 s1, 2.0
	.loc	1 43 56                         ; geglu_aot.py:43:56
	v_cvt_f32_f16_e32 v5, v9
	.loc	1 46 81                         ; geglu_aot.py:46:81
	v_cndmask_b32_e64 v7, 1.0, 2.0, vcc
	v_fma_f32 v8, v6, v7, 1.0
	v_rcp_f32_e32 v47, v8
	v_add_f32_e32 v46, -1.0, v8
	v_fma_f32 v49, v6, v7, -v46
	v_fma_f32 v7, v6, v7, -1.0
	v_mul_f32_e32 v46, v7, v47
	v_mul_f32_e32 v48, v8, v46
	v_fma_f32 v50, v46, v8, -v48
	v_fmac_f32_e32 v50, v46, v49
	v_fma_f32 v6, v8, v46, v50
	v_sub_f32_e32 v49, v7, v6
	v_pk_add_f32 v[52:53], v[6:7], v[48:49] neg_lo:[0,1] neg_hi:[0,1]
	v_mov_b32_e32 v51, v6
	v_pk_add_f32 v[50:51], v[52:53], v[50:51] neg_lo:[0,1] neg_hi:[0,1]
	v_mov_b32_e32 v63, 0x3ecccdef
	v_add_f32_e32 v6, v50, v51
	v_add_f32_e32 v6, v49, v6
	v_fmac_f32_e32 v46, v47, v6
	v_fma_f32 v7, -v7, v47, v46
	v_fma_f32 v8, v47, v6, -v7
	v_mul_f32_e32 v7, v46, v46
	v_add_f32_e32 v6, v8, v8
	v_fma_f32 v7, v46, v46, -v7
	v_fmac_f32_e32 v7, v46, v6
	v_fma_f32 v6, v46, v46, v7
	v_fma_f32 v47, -v46, v46, v6
	v_sub_f32_e32 v54, v7, v47
	v_fmamk_f32 v7, v6, 0x3e76c4e1, v62
	v_fmaak_f32 v7, v6, v7, 0x3ecccdef
	v_mul_f32_e32 v47, v6, v7
	v_fma_f32 v47, v6, v7, -v47
	v_fmac_f32_e32 v47, v54, v7
	v_fma_f32 v48, v6, v7, v47
	v_fma_f32 v7, -v6, v7, v48
	v_add_f32_e32 v49, 0x3f2aaaaa, v48
	v_sub_f32_e32 v7, v47, v7
	v_add_f32_e32 v47, 0x31739010, v7
	v_add_f32_e32 v7, 0xbf2aaaaa, v49
	v_sub_f32_e32 v7, v48, v7
	v_pk_mul_f32 v[50:51], v[46:47], v[6:7]
	v_pk_add_f32 v[52:53], v[46:47], v[6:7]
	v_fma_f32 v48, v6, v46, -v50
	v_fmac_f32_e32 v48, v6, v8
	v_mov_b32_e32 v51, v53
	v_fmac_f32_e32 v48, v54, v46
	v_pk_add_f32 v[50:51], v[50:51], v[48:49]
	s_mov_b32 s8, 0xc2ce8ed0
	v_pk_fma_f32 v[6:7], v[46:47], v[6:7], v[50:51] neg_lo:[1,0,0] neg_hi:[1,0,0]
	v_mul_f32_e32 v47, v50, v51
	v_sub_f32_e32 v7, v49, v51
	v_sub_f32_e32 v6, v48, v6
	v_add_f32_e32 v7, v53, v7
	v_fma_f32 v48, v50, v51, -v47
	v_fmac_f32_e32 v48, v50, v7
	v_fmac_f32_e32 v48, v6, v51
	v_cvt_f64_f32_e64 v[6:7], |v4|
	v_frexp_exp_i32_f64_e32 v6, v[6:7]
	v_subbrev_co_u32_e32 v6, vcc, 0, v6, vcc
	v_cvt_f32_i32_e32 v6, v6
	v_fma_f32 v47, v50, v51, v48
	v_fma_f32 v7, -v50, v51, v47
	v_sub_f32_e32 v52, v48, v7
	v_mov_b32_e32 v7, v46
	v_pk_mul_f32 v[48:49], v[6:7], s[0:1]
	v_fmac_f32_e32 v52, 2.0, v8
	v_fma_f32 v46, v6, s0, -v48
	v_fmac_f32_e32 v46, 0xb102e308, v6
	v_pk_fma_f32 v[50:51], v[6:7], s[0:1], v[46:47]
	.loc	1 46 50 is_stmt 0               ; geglu_aot.py:46:50
	v_mul_f32_e32 v66, 0x3f4c422a, v4
	.loc	1 46 81                         ; geglu_aot.py:46:81
	v_pk_fma_f32 v[6:7], v[6:7], s[0:1], v[50:51] neg_lo:[1,0,0] neg_hi:[1,0,0]
	s_nop 0
	v_sub_f32_e32 v7, v47, v7
	v_add_f32_e32 v49, v52, v7
	v_pk_add_f32 v[52:53], v[50:51], v[48:49]
	v_mov_b32_e32 v47, v50
	v_mov_b32_e32 v7, v53
	v_pk_add_f32 v[54:55], v[46:47], v[6:7] neg_lo:[0,1] neg_hi:[0,1]
	v_pk_add_f32 v[6:7], v[46:47], v[6:7]
	v_mov_b32_e32 v48, v49
	v_pk_add_f32 v[46:47], v[6:7], v[50:51] op_sel:[1,0] op_sel_hi:[0,1] neg_lo:[0,1] neg_hi:[0,1]
	v_pk_add_f32 v[56:57], v[52:53], v[46:47] op_sel_hi:[1,0] neg_lo:[0,1] neg_hi:[0,1]
	v_mov_b32_e32 v6, v53
	v_pk_mov_b32 v[46:47], v[50:51], v[46:47] op_sel:[1,0]
	v_mov_b32_e32 v49, v50
	v_pk_add_f32 v[46:47], v[6:7], v[46:47] neg_lo:[0,1] neg_hi:[0,1]
	v_frexp_mant_f32_e64 v6, |v5|
	v_cmp_gt_f32_e32 vcc, s2, v6
	v_pk_add_f32 v[46:47], v[48:49], v[46:47] neg_lo:[0,1] neg_hi:[0,1]
	v_mov_b32_e32 v56, v54
	v_cndmask_b32_e64 v8, 1.0, 2.0, vcc
	v_pk_add_f32 v[48:49], v[56:57], v[46:47]
	v_fma_f32 v47, v6, v8, 1.0
	v_rcp_f32_e32 v53, v47
	v_fma_f32 v51, v6, v8, -1.0
	v_add_f32_e32 v50, -1.0, v47
	v_fma_f32 v50, v6, v8, -v50
	v_mul_f32_e32 v52, v51, v53
	v_mul_f32_e32 v56, v47, v52
	v_fma_f32 v58, v52, v47, -v56
	v_fmac_f32_e32 v58, v52, v50
	v_fma_f32 v50, v47, v52, v58
	v_sub_f32_e32 v57, v51, v50
	v_pk_add_f32 v[60:61], v[50:51], v[56:57] neg_lo:[0,1] neg_hi:[0,1]
	v_mov_b32_e32 v59, v50
	v_pk_add_f32 v[58:59], v[60:61], v[58:59] neg_lo:[0,1] neg_hi:[0,1]
	v_mov_b32_e32 v55, v7
	v_add_f32_e32 v6, v58, v59
	v_add_f32_e32 v6, v57, v6
	v_fmac_f32_e32 v52, v53, v6
	v_fma_f32 v8, -v51, v53, v52
	v_fma_f32 v6, v53, v6, -v8
	v_mul_f32_e32 v47, v52, v52
	v_add_f32_e32 v8, v6, v6
	v_fma_f32 v47, v52, v52, -v47
	v_fmac_f32_e32 v47, v52, v8
	v_fma_f32 v50, v52, v52, v47
	v_fmac_f32_e32 v62, 0x3e76c4e1, v50
	v_fma_f32 v8, -v52, v52, v50
	v_fmac_f32_e32 v63, v50, v62
	v_sub_f32_e32 v8, v47, v8
	v_mul_f32_e32 v47, v50, v63
	v_fma_f32 v47, v50, v63, -v47
	v_fmac_f32_e32 v47, v8, v63
	v_fma_f32 v51, v50, v63, v47
	v_fma_f32 v53, -v50, v63, v51
	v_add_f32_e32 v57, 0x3f2aaaaa, v51
	v_sub_f32_e32 v47, v47, v53
	v_add_f32_e32 v53, 0x31739010, v47
	v_add_f32_e32 v47, 0xbf2aaaaa, v57
	v_sub_f32_e32 v51, v51, v47
	v_pk_mul_f32 v[58:59], v[52:53], v[50:51]
	v_pk_add_f32 v[60:61], v[52:53], v[50:51]
	v_fma_f32 v56, v50, v52, -v58
	v_fmac_f32_e32 v56, v50, v6
	v_mov_b32_e32 v59, v61
	v_fmac_f32_e32 v56, v8, v52
	v_pk_add_f32 v[58:59], v[58:59], v[56:57]
	s_mov_b32 s2, 0x7f800000
	v_pk_fma_f32 v[50:51], v[52:53], v[50:51], v[58:59] neg_lo:[1,0,0] neg_hi:[1,0,0]
	v_sub_f32_e32 v47, v57, v59
	v_sub_f32_e32 v8, v56, v50
	v_mul_f32_e32 v50, v58, v59
	v_add_f32_e32 v47, v61, v47
	v_fma_f32 v56, v58, v59, -v50
	v_fmac_f32_e32 v56, v58, v47
	v_cvt_f64_f32_e64 v[50:51], |v5|
	v_fmac_f32_e32 v56, v8, v59
	v_frexp_exp_i32_f64_e32 v8, v[50:51]
	v_subbrev_co_u32_e32 v8, vcc, 0, v8, vcc
	v_cvt_f32_i32_e32 v50, v8
	v_fma_f32 v53, v58, v59, v56
	v_fma_f32 v8, -v58, v59, v53
	v_mov_b32_e32 v51, v52
	v_sub_f32_e32 v8, v56, v8
	v_pk_mul_f32 v[56:57], v[50:51], s[0:1]
	v_fmac_f32_e32 v8, 2.0, v6
	v_fma_f32 v52, v50, s0, -v56
	v_fmac_f32_e32 v52, 0xb102e308, v50
	v_pk_fma_f32 v[58:59], v[50:51], s[0:1], v[52:53]
	s_nop 0
	v_pk_fma_f32 v[50:51], v[50:51], s[0:1], v[58:59] neg_lo:[1,0,0] neg_hi:[1,0,0]
	s_nop 0
	v_sub_f32_e32 v6, v53, v51
	v_add_f32_e32 v57, v8, v6
	v_pk_add_f32 v[60:61], v[58:59], v[56:57]
	v_mov_b32_e32 v53, v58
	v_mov_b32_e32 v51, v61
	v_pk_add_f32 v[62:63], v[52:53], v[50:51] neg_lo:[0,1] neg_hi:[0,1]
	v_pk_add_f32 v[50:51], v[52:53], v[50:51]
	v_mov_b32_e32 v56, v57
	v_pk_add_f32 v[52:53], v[50:51], v[58:59] op_sel:[1,0] op_sel_hi:[0,1] neg_lo:[0,1] neg_hi:[0,1]
	v_pk_add_f32 v[64:65], v[60:61], v[52:53] op_sel_hi:[1,0] neg_lo:[0,1] neg_hi:[0,1]
	v_mov_b32_e32 v50, v61
	v_pk_mov_b32 v[52:53], v[58:59], v[52:53] op_sel:[1,0]
	v_mov_b32_e32 v57, v58
	v_pk_add_f32 v[52:53], v[50:51], v[52:53] neg_lo:[0,1] neg_hi:[0,1]
	v_mov_b32_e32 v64, v62
	v_pk_add_f32 v[52:53], v[56:57], v[52:53] neg_lo:[0,1] neg_hi:[0,1]
	v_mov_b32_e32 v59, v48
	v_pk_add_f32 v[56:57], v[64:65], v[52:53]
	v_mov_b32_e32 v61, v49
	v_mov_b32_e32 v58, v56
	;; [unrolled: 1-line block ×3, first 2 shown]
	v_pk_add_f32 v[60:61], v[58:59], v[60:61]
	v_mov_b32_e32 v6, v51
	v_pk_add_f32 v[6:7], v[6:7], v[60:61]
	v_mov_b32_e32 v63, v51
	v_mov_b32_e32 v49, v7
	;; [unrolled: 1-line block ×3, first 2 shown]
	v_pk_add_f32 v[48:49], v[48:49], v[54:55] neg_lo:[0,1] neg_hi:[0,1]
	v_pk_add_f32 v[50:51], v[56:57], v[62:63] neg_lo:[0,1] neg_hi:[0,1]
	v_mov_b32_e32 v47, v61
	v_mov_b32_e32 v56, v50
	;; [unrolled: 1-line block ×4, first 2 shown]
	v_pk_add_f32 v[46:47], v[46:47], v[48:49] neg_lo:[0,1] neg_hi:[0,1]
	v_pk_add_f32 v[48:49], v[58:59], v[56:57] neg_lo:[0,1] neg_hi:[0,1]
	v_mov_b32_e32 v63, v54
	v_pk_add_f32 v[50:51], v[52:53], v[50:51] neg_lo:[0,1] neg_hi:[0,1]
	v_pk_add_f32 v[48:49], v[62:63], v[48:49] neg_lo:[0,1] neg_hi:[0,1]
	v_mov_b32_e32 v52, v50
	v_mov_b32_e32 v53, v46
	v_pk_add_f32 v[48:49], v[52:53], v[48:49]
	v_mov_b32_e32 v46, v51
	v_pk_add_f32 v[46:47], v[48:49], v[46:47]
	;; [unrolled: 2-line block ×3, first 2 shown]
	s_nop 0
	v_pk_add_f32 v[6:7], v[48:49], v[6:7] neg_lo:[0,1] neg_hi:[0,1]
	v_mul_f32_e32 v51, 0, v49
	v_pk_add_f32 v[6:7], v[46:47], v[6:7] neg_lo:[0,1] neg_hi:[0,1]
	v_pk_add_f32 v[46:47], v[48:49], v[48:49]
	v_mov_b32_e32 v52, v49
	v_pk_add_f32 v[54:55], v[46:47], 0 neg_lo:[1,1] neg_hi:[1,1]
	v_mov_b32_e32 v53, v7
	v_mov_b32_e32 v50, v55
	v_pk_fma_f32 v[50:51], v[52:53], 2.0, v[50:51] op_sel_hi:[1,0,1]
	v_mul_f32_e32 v55, 0, v48
	v_mov_b32_e32 v52, v48
	v_mov_b32_e32 v53, v6
	v_pk_fma_f32 v[6:7], v[52:53], 2.0, v[54:55] op_sel_hi:[1,0,1]
	v_mov_b32_e32 v53, v50
	v_mov_b32_e32 v52, v6
	;; [unrolled: 1-line block ×3, first 2 shown]
	v_pk_add_f32 v[6:7], v[52:53], v[50:51]
	v_cmp_class_f32_e32 vcc, v47, v8
	v_pk_fma_f32 v[50:51], v[48:49], 2.0, v[6:7] op_sel_hi:[1,0,1]
	s_nop 0
	v_cndmask_b32_e32 v47, v51, v47, vcc
	v_cmp_class_f32_e32 vcc, v46, v8
	v_pk_fma_f32 v[48:49], v[48:49], 2.0, v[50:51] op_sel_hi:[1,0,1] neg_lo:[1,0,0] neg_hi:[1,0,0]
	s_nop 0
	v_cndmask_b32_e32 v8, v50, v46, vcc
	v_mov_b32_e32 v46, 0x37000000
	v_cmp_eq_f32_e32 vcc, s6, v47
	v_pk_add_f32 v[6:7], v[6:7], v[48:49] neg_lo:[0,1] neg_hi:[0,1]
	s_nop 0
	v_cndmask_b32_e32 v46, 0, v46, vcc
	v_sub_f32_e32 v48, v47, v46
	v_mul_f32_e32 v49, 0x3fb8aa3b, v48
	v_fma_f32 v50, v48, s7, -v49
	v_rndne_f32_e32 v49, v49
	v_fmac_f32_e32 v50, 0x32a5705f, v48
	v_fma_f32 v51, v48, s7, -v49
	v_add_f32_e32 v50, v51, v50
	v_exp_f32_e32 v50, v50
	v_cvt_i32_f32_e32 v49, v49
	v_cmp_neq_f32_e64 vcc, |v47|, s2
	v_cmp_ngt_f32_e64 s[0:1], s8, v48
	s_nop 0
	v_cndmask_b32_e32 v7, 0, v7, vcc
	v_add_f32_e32 v46, v46, v7
	v_ldexp_f32 v7, v50, v49
	v_cndmask_b32_e64 v47, 0, v7, s[0:1]
	v_mov_b32_e32 v7, 0x7f800000
	v_cmp_nlt_f32_e64 s[0:1], s6, v48
	v_cmp_eq_f32_e32 vcc, s6, v8
	s_nop 0
	v_cndmask_b32_e64 v47, v7, v47, s[0:1]
	s_movk_i32 s0, 0x204
	v_fma_f32 v46, v47, v46, v47
	v_cmp_class_f32_e64 s[0:1], v47, s0
	s_nop 1
	v_cndmask_b32_e64 v46, v46, v47, s[0:1]
	s_mov_b32 s0, 0x3d372713
	.loc	1 46 61                         ; geglu_aot.py:46:61
	v_fma_f32 v46, |v46|, s0, 1.0
	.loc	1 46 81                         ; geglu_aot.py:46:81
	v_cmp_neq_f32_e64 s[0:1], |v4|, s2
                                        ; implicit-def: $vgpr47
	s_nop 1
	v_cndmask_b32_e64 v46, v7, v46, s[0:1]
	v_cmp_neq_f16_e64 s[0:1], 0, v10
	s_nop 1
	v_cndmask_b32_e64 v10, 1.0, v46, s[0:1]
	.loc	1 46 57                         ; geglu_aot.py:46:57
	v_mul_f32_e32 v46, v66, v10
	s_mov_b32 s0, 0x3f200000
	.loc	1 46 37                         ; geglu_aot.py:46:37
	v_cmp_nlt_f32_e64 s[0:1], |v46|, s0
	s_and_saveexec_b64 s[2:3], s[0:1]
	s_xor_b64 s[2:3], exec, s[2:3]
	s_cbranch_execz .LBB0_82
; %bb.81:
	v_add_f32_e64 v10, |v46|, |v46|
	v_mul_f32_e32 v47, 0x3fb8aa3b, v10
	v_fma_f32 v48, v10, s7, -v47
	v_rndne_f32_e32 v47, v47
	v_fmac_f32_e32 v48, 0x32a5705f, v10
	v_fma_f32 v49, v10, s7, -v47
	v_add_f32_e32 v48, v49, v48
	v_cvt_i32_f32_e32 v47, v47
	v_exp_f32_e32 v48, v48
	v_cmp_ngt_f32_e64 s[0:1], s8, v10
	v_ldexp_f32 v47, v48, v47
	s_nop 0
	v_cndmask_b32_e64 v47, 0, v47, s[0:1]
	v_cmp_nlt_f32_e64 s[0:1], s6, v10
	s_nop 1
	v_cndmask_b32_e64 v7, v7, v47, s[0:1]
	v_add_f32_e32 v7, 1.0, v7
	v_rcp_f32_e32 v7, v7
	s_nop 0
	v_fma_f32 v47, v7, -2.0, 1.0
.LBB0_82:                               ; %Flow11
	.loc	1 0 37                          ; geglu_aot.py:0:37
	s_or_saveexec_b64 s[0:1], s[2:3]
	.loc	1 46 0                          ; geglu_aot.py:46
	v_and_b32_e32 v7, 0x7fffffff, v5
	s_xor_b64 exec, exec, s[0:1]
; %bb.83:
	.loc	1 46 37                         ; geglu_aot.py:46:37
	v_mul_f32_e32 v10, v46, v46
	v_mov_b32_e32 v47, 0x3ca908c9
	v_fmac_f32_e32 v47, 0xbbbac73d, v10
	v_fmaak_f32 v47, v10, v47, 0xbd5c1c4e
	v_fmaak_f32 v47, v10, v47, 0x3e088382
	;; [unrolled: 1-line block ×3, first 2 shown]
	v_mul_f32_e64 v47, |v46|, v47
	v_fma_f32 v47, v10, v47, |v46|
; %bb.84:                               ; %__ocml_tanh_f32.exit4
	.loc	1 0 37                          ; geglu_aot.py:0:37
	s_or_b64 exec, exec, s[0:1]
	.loc	1 46 81                         ; geglu_aot.py:46:81
	v_mov_b32_e32 v48, 0x37000000
	v_cndmask_b32_e32 v48, 0, v48, vcc
	v_sub_f32_e32 v49, v8, v48
	s_mov_b32 s2, 0x3fb8aa3b
	v_mul_f32_e32 v50, 0x3fb8aa3b, v49
	v_fma_f32 v51, v49, s2, -v50
	v_rndne_f32_e32 v50, v50
	v_fmac_f32_e32 v51, 0x32a5705f, v49
	v_fma_f32 v52, v49, s2, -v50
	v_add_f32_e32 v51, v52, v51
	v_exp_f32_e32 v51, v51
	v_cvt_i32_f32_e32 v50, v50
	s_mov_b32 s0, 0x7f800000
	v_cmp_neq_f32_e64 vcc, |v8|, s0
	s_mov_b32 s3, 0xc2ce8ed0
	s_movk_i32 s1, 0x204
	v_cndmask_b32_e32 v6, 0, v6, vcc
	v_add_f32_e32 v8, v48, v6
	v_ldexp_f32 v6, v51, v50
	v_cmp_ngt_f32_e32 vcc, s3, v49
	.loc	1 46 50                         ; geglu_aot.py:46:50
	v_mul_f32_e32 v10, 0x3f4c422a, v5
	.loc	1 46 81                         ; geglu_aot.py:46:81
	s_nop 0
	v_cndmask_b32_e32 v48, 0, v6, vcc
	v_mov_b32_e32 v6, 0x7f800000
	v_cmp_nlt_f32_e32 vcc, s6, v49
                                        ; implicit-def: $vgpr49
	s_nop 1
	v_cndmask_b32_e32 v48, v6, v48, vcc
	v_fma_f32 v8, v48, v8, v48
	v_cmp_class_f32_e64 vcc, v48, s1
	s_mov_b32 s1, 0x3d372713
	s_nop 0
	v_cndmask_b32_e32 v8, v8, v48, vcc
	.loc	1 46 61                         ; geglu_aot.py:46:61
	v_fma_f32 v8, |v8|, s1, 1.0
	.loc	1 46 81                         ; geglu_aot.py:46:81
	v_cmp_neq_f32_e32 vcc, s0, v7
	s_mov_b32 s0, 0x3f200000
	s_nop 0
	v_cndmask_b32_e32 v7, v6, v8, vcc
	v_cmp_neq_f16_e32 vcc, 0, v9
	s_nop 1
	v_cndmask_b32_e32 v7, 1.0, v7, vcc
	.loc	1 46 57                         ; geglu_aot.py:46:57
	v_mul_f32_e32 v48, v10, v7
	.loc	1 46 37                         ; geglu_aot.py:46:37
	v_cmp_nlt_f32_e64 s[0:1], |v48|, s0
	s_and_saveexec_b64 s[8:9], s[0:1]
	s_xor_b64 s[0:1], exec, s[8:9]
	s_cbranch_execz .LBB0_86
; %bb.85:
	v_add_f32_e64 v7, |v48|, |v48|
	v_mul_f32_e32 v8, 0x3fb8aa3b, v7
	v_fma_f32 v9, v7, s2, -v8
	v_rndne_f32_e32 v8, v8
	v_fmac_f32_e32 v9, 0x32a5705f, v7
	v_fma_f32 v10, v7, s2, -v8
	v_add_f32_e32 v9, v10, v9
	v_cvt_i32_f32_e32 v8, v8
	v_exp_f32_e32 v9, v9
	v_cmp_ngt_f32_e32 vcc, s3, v7
	v_ldexp_f32 v8, v9, v8
	s_nop 0
	v_cndmask_b32_e32 v8, 0, v8, vcc
	v_cmp_nlt_f32_e32 vcc, s6, v7
	s_nop 1
	v_cndmask_b32_e32 v6, v6, v8, vcc
	v_add_f32_e32 v6, 1.0, v6
	v_rcp_f32_e32 v6, v6
	s_nop 0
	v_fma_f32 v49, v6, -2.0, 1.0
.LBB0_86:                               ; %Flow10
	.loc	1 0 37                          ; geglu_aot.py:0:37
	s_andn2_saveexec_b64 s[0:1], s[0:1]
; %bb.87:
	.loc	1 46 37 is_stmt 1               ; geglu_aot.py:46:37
	v_mul_f32_e32 v6, v48, v48
	v_mov_b32_e32 v7, 0x3ca908c9
	v_fmac_f32_e32 v7, 0xbbbac73d, v6
	v_fmaak_f32 v7, v6, v7, 0xbd5c1c4e
	v_fmaak_f32 v7, v6, v7, 0x3e088382
	;; [unrolled: 1-line block ×3, first 2 shown]
	v_mul_f32_e64 v7, |v48|, v7
	v_fma_f32 v49, v6, v7, |v48|
; %bb.88:                               ; %__ocml_tanh_f32.exit5
	.loc	1 0 37 is_stmt 0                ; geglu_aot.py:0:37
	s_or_b64 exec, exec, s[0:1]
	.loc	1 43 56 is_stmt 1               ; geglu_aot.py:43:56
	v_cvt_f32_f16_e32 v6, v12
	s_mov_b32 s2, 0x3f2aaaab
	v_mov_b32_e32 v66, 0x3e91f4c4
	s_mov_b32 s0, 0x3f317218
	.loc	1 46 81                         ; geglu_aot.py:46:81
	v_frexp_mant_f32_e64 v8, |v6|
	v_cmp_gt_f32_e32 vcc, s2, v8
	s_mov_b32 s1, 2.0
	.loc	1 43 56                         ; geglu_aot.py:43:56
	v_cvt_f32_f16_e32 v7, v11
	.loc	1 46 81                         ; geglu_aot.py:46:81
	v_cndmask_b32_e64 v9, 1.0, 2.0, vcc
	v_fma_f32 v10, v8, v9, 1.0
	v_rcp_f32_e32 v51, v10
	v_add_f32_e32 v50, -1.0, v10
	v_fma_f32 v53, v8, v9, -v50
	v_fma_f32 v9, v8, v9, -1.0
	v_mul_f32_e32 v50, v9, v51
	v_mul_f32_e32 v52, v10, v50
	v_fma_f32 v54, v50, v10, -v52
	v_fmac_f32_e32 v54, v50, v53
	v_fma_f32 v8, v10, v50, v54
	v_sub_f32_e32 v53, v9, v8
	v_pk_add_f32 v[56:57], v[8:9], v[52:53] neg_lo:[0,1] neg_hi:[0,1]
	v_mov_b32_e32 v55, v8
	v_pk_add_f32 v[54:55], v[56:57], v[54:55] neg_lo:[0,1] neg_hi:[0,1]
	v_mov_b32_e32 v67, 0x3ecccdef
	v_add_f32_e32 v8, v54, v55
	v_add_f32_e32 v8, v53, v8
	v_fmac_f32_e32 v50, v51, v8
	v_fma_f32 v9, -v9, v51, v50
	v_fma_f32 v10, v51, v8, -v9
	v_mul_f32_e32 v9, v50, v50
	v_add_f32_e32 v8, v10, v10
	v_fma_f32 v9, v50, v50, -v9
	v_fmac_f32_e32 v9, v50, v8
	v_fma_f32 v8, v50, v50, v9
	v_fma_f32 v51, -v50, v50, v8
	v_sub_f32_e32 v58, v9, v51
	v_fmamk_f32 v9, v8, 0x3e76c4e1, v66
	v_fmaak_f32 v9, v8, v9, 0x3ecccdef
	v_mul_f32_e32 v51, v8, v9
	v_fma_f32 v51, v8, v9, -v51
	v_fmac_f32_e32 v51, v58, v9
	v_fma_f32 v52, v8, v9, v51
	v_fma_f32 v9, -v8, v9, v52
	v_add_f32_e32 v53, 0x3f2aaaaa, v52
	v_sub_f32_e32 v9, v51, v9
	v_add_f32_e32 v51, 0x31739010, v9
	v_add_f32_e32 v9, 0xbf2aaaaa, v53
	v_sub_f32_e32 v9, v52, v9
	v_pk_mul_f32 v[54:55], v[50:51], v[8:9]
	v_pk_add_f32 v[56:57], v[50:51], v[8:9]
	v_fma_f32 v52, v8, v50, -v54
	v_fmac_f32_e32 v52, v8, v10
	v_mov_b32_e32 v55, v57
	v_fmac_f32_e32 v52, v58, v50
	v_pk_add_f32 v[54:55], v[54:55], v[52:53]
	s_mov_b32 s8, 0xc2ce8ed0
	v_pk_fma_f32 v[8:9], v[50:51], v[8:9], v[54:55] neg_lo:[1,0,0] neg_hi:[1,0,0]
	v_mul_f32_e32 v51, v54, v55
	v_sub_f32_e32 v9, v53, v55
	v_sub_f32_e32 v8, v52, v8
	v_add_f32_e32 v9, v57, v9
	v_fma_f32 v52, v54, v55, -v51
	v_fmac_f32_e32 v52, v54, v9
	v_fmac_f32_e32 v52, v8, v55
	v_cvt_f64_f32_e64 v[8:9], |v6|
	v_frexp_exp_i32_f64_e32 v8, v[8:9]
	v_subbrev_co_u32_e32 v8, vcc, 0, v8, vcc
	v_cvt_f32_i32_e32 v8, v8
	v_fma_f32 v51, v54, v55, v52
	v_fma_f32 v9, -v54, v55, v51
	v_sub_f32_e32 v56, v52, v9
	v_mov_b32_e32 v9, v50
	v_pk_mul_f32 v[52:53], v[8:9], s[0:1]
	v_fmac_f32_e32 v56, 2.0, v10
	v_fma_f32 v50, v8, s0, -v52
	v_fmac_f32_e32 v50, 0xb102e308, v8
	v_pk_fma_f32 v[54:55], v[8:9], s[0:1], v[50:51]
	.loc	1 46 50 is_stmt 0               ; geglu_aot.py:46:50
	v_mul_f32_e32 v70, 0x3f4c422a, v6
	.loc	1 46 81                         ; geglu_aot.py:46:81
	v_pk_fma_f32 v[8:9], v[8:9], s[0:1], v[54:55] neg_lo:[1,0,0] neg_hi:[1,0,0]
	s_nop 0
	v_sub_f32_e32 v9, v51, v9
	v_add_f32_e32 v53, v56, v9
	v_pk_add_f32 v[56:57], v[54:55], v[52:53]
	v_mov_b32_e32 v51, v54
	v_mov_b32_e32 v9, v57
	v_pk_add_f32 v[58:59], v[50:51], v[8:9] neg_lo:[0,1] neg_hi:[0,1]
	v_pk_add_f32 v[8:9], v[50:51], v[8:9]
	v_mov_b32_e32 v52, v53
	v_pk_add_f32 v[50:51], v[8:9], v[54:55] op_sel:[1,0] op_sel_hi:[0,1] neg_lo:[0,1] neg_hi:[0,1]
	v_pk_add_f32 v[60:61], v[56:57], v[50:51] op_sel_hi:[1,0] neg_lo:[0,1] neg_hi:[0,1]
	v_mov_b32_e32 v8, v57
	v_pk_mov_b32 v[50:51], v[54:55], v[50:51] op_sel:[1,0]
	v_mov_b32_e32 v53, v54
	v_pk_add_f32 v[50:51], v[8:9], v[50:51] neg_lo:[0,1] neg_hi:[0,1]
	v_frexp_mant_f32_e64 v8, |v7|
	v_cmp_gt_f32_e32 vcc, s2, v8
	v_pk_add_f32 v[50:51], v[52:53], v[50:51] neg_lo:[0,1] neg_hi:[0,1]
	v_mov_b32_e32 v60, v58
	v_cndmask_b32_e64 v10, 1.0, 2.0, vcc
	v_pk_add_f32 v[52:53], v[60:61], v[50:51]
	v_fma_f32 v51, v8, v10, 1.0
	v_rcp_f32_e32 v57, v51
	v_fma_f32 v55, v8, v10, -1.0
	v_add_f32_e32 v54, -1.0, v51
	v_fma_f32 v54, v8, v10, -v54
	v_mul_f32_e32 v56, v55, v57
	v_mul_f32_e32 v60, v51, v56
	v_fma_f32 v62, v56, v51, -v60
	v_fmac_f32_e32 v62, v56, v54
	v_fma_f32 v54, v51, v56, v62
	v_sub_f32_e32 v61, v55, v54
	v_pk_add_f32 v[64:65], v[54:55], v[60:61] neg_lo:[0,1] neg_hi:[0,1]
	v_mov_b32_e32 v63, v54
	v_pk_add_f32 v[62:63], v[64:65], v[62:63] neg_lo:[0,1] neg_hi:[0,1]
	v_mov_b32_e32 v59, v9
	v_add_f32_e32 v8, v62, v63
	v_add_f32_e32 v8, v61, v8
	v_fmac_f32_e32 v56, v57, v8
	v_fma_f32 v10, -v55, v57, v56
	v_fma_f32 v8, v57, v8, -v10
	v_mul_f32_e32 v51, v56, v56
	v_add_f32_e32 v10, v8, v8
	v_fma_f32 v51, v56, v56, -v51
	v_fmac_f32_e32 v51, v56, v10
	v_fma_f32 v54, v56, v56, v51
	v_fmac_f32_e32 v66, 0x3e76c4e1, v54
	v_fma_f32 v10, -v56, v56, v54
	v_fmac_f32_e32 v67, v54, v66
	v_sub_f32_e32 v10, v51, v10
	v_mul_f32_e32 v51, v54, v67
	v_fma_f32 v51, v54, v67, -v51
	v_fmac_f32_e32 v51, v10, v67
	v_fma_f32 v55, v54, v67, v51
	v_fma_f32 v57, -v54, v67, v55
	v_add_f32_e32 v61, 0x3f2aaaaa, v55
	v_sub_f32_e32 v51, v51, v57
	v_add_f32_e32 v57, 0x31739010, v51
	v_add_f32_e32 v51, 0xbf2aaaaa, v61
	v_sub_f32_e32 v55, v55, v51
	v_pk_mul_f32 v[62:63], v[56:57], v[54:55]
	v_pk_add_f32 v[64:65], v[56:57], v[54:55]
	v_fma_f32 v60, v54, v56, -v62
	v_fmac_f32_e32 v60, v54, v8
	v_mov_b32_e32 v63, v65
	v_fmac_f32_e32 v60, v10, v56
	v_pk_add_f32 v[62:63], v[62:63], v[60:61]
	s_mov_b32 s2, 0x7f800000
	v_pk_fma_f32 v[54:55], v[56:57], v[54:55], v[62:63] neg_lo:[1,0,0] neg_hi:[1,0,0]
	v_sub_f32_e32 v51, v61, v63
	v_sub_f32_e32 v10, v60, v54
	v_mul_f32_e32 v54, v62, v63
	v_add_f32_e32 v51, v65, v51
	v_fma_f32 v60, v62, v63, -v54
	v_fmac_f32_e32 v60, v62, v51
	v_cvt_f64_f32_e64 v[54:55], |v7|
	v_fmac_f32_e32 v60, v10, v63
	v_frexp_exp_i32_f64_e32 v10, v[54:55]
	v_subbrev_co_u32_e32 v10, vcc, 0, v10, vcc
	v_cvt_f32_i32_e32 v54, v10
	v_fma_f32 v57, v62, v63, v60
	v_fma_f32 v10, -v62, v63, v57
	v_mov_b32_e32 v55, v56
	v_sub_f32_e32 v10, v60, v10
	v_pk_mul_f32 v[60:61], v[54:55], s[0:1]
	v_fmac_f32_e32 v10, 2.0, v8
	v_fma_f32 v56, v54, s0, -v60
	v_fmac_f32_e32 v56, 0xb102e308, v54
	v_pk_fma_f32 v[62:63], v[54:55], s[0:1], v[56:57]
	s_nop 0
	v_pk_fma_f32 v[54:55], v[54:55], s[0:1], v[62:63] neg_lo:[1,0,0] neg_hi:[1,0,0]
	s_nop 0
	v_sub_f32_e32 v8, v57, v55
	v_add_f32_e32 v61, v10, v8
	v_pk_add_f32 v[64:65], v[62:63], v[60:61]
	v_mov_b32_e32 v57, v62
	v_mov_b32_e32 v55, v65
	v_pk_add_f32 v[66:67], v[56:57], v[54:55] neg_lo:[0,1] neg_hi:[0,1]
	v_pk_add_f32 v[54:55], v[56:57], v[54:55]
	v_mov_b32_e32 v60, v61
	v_pk_add_f32 v[56:57], v[54:55], v[62:63] op_sel:[1,0] op_sel_hi:[0,1] neg_lo:[0,1] neg_hi:[0,1]
	v_pk_add_f32 v[68:69], v[64:65], v[56:57] op_sel_hi:[1,0] neg_lo:[0,1] neg_hi:[0,1]
	v_mov_b32_e32 v54, v65
	v_pk_mov_b32 v[56:57], v[62:63], v[56:57] op_sel:[1,0]
	v_mov_b32_e32 v61, v62
	v_pk_add_f32 v[56:57], v[54:55], v[56:57] neg_lo:[0,1] neg_hi:[0,1]
	v_mov_b32_e32 v68, v66
	v_pk_add_f32 v[56:57], v[60:61], v[56:57] neg_lo:[0,1] neg_hi:[0,1]
	v_mov_b32_e32 v63, v52
	v_pk_add_f32 v[60:61], v[68:69], v[56:57]
	v_mov_b32_e32 v65, v53
	v_mov_b32_e32 v62, v60
	;; [unrolled: 1-line block ×3, first 2 shown]
	v_pk_add_f32 v[64:65], v[62:63], v[64:65]
	v_mov_b32_e32 v8, v55
	v_pk_add_f32 v[8:9], v[8:9], v[64:65]
	v_mov_b32_e32 v67, v55
	v_mov_b32_e32 v53, v9
	;; [unrolled: 1-line block ×3, first 2 shown]
	v_pk_add_f32 v[52:53], v[52:53], v[58:59] neg_lo:[0,1] neg_hi:[0,1]
	v_pk_add_f32 v[54:55], v[60:61], v[66:67] neg_lo:[0,1] neg_hi:[0,1]
	v_mov_b32_e32 v51, v65
	v_mov_b32_e32 v60, v54
	;; [unrolled: 1-line block ×4, first 2 shown]
	v_pk_add_f32 v[50:51], v[50:51], v[52:53] neg_lo:[0,1] neg_hi:[0,1]
	v_pk_add_f32 v[52:53], v[62:63], v[60:61] neg_lo:[0,1] neg_hi:[0,1]
	v_mov_b32_e32 v67, v58
	v_pk_add_f32 v[54:55], v[56:57], v[54:55] neg_lo:[0,1] neg_hi:[0,1]
	v_pk_add_f32 v[52:53], v[66:67], v[52:53] neg_lo:[0,1] neg_hi:[0,1]
	v_mov_b32_e32 v56, v54
	v_mov_b32_e32 v57, v50
	v_pk_add_f32 v[52:53], v[56:57], v[52:53]
	v_mov_b32_e32 v50, v55
	v_pk_add_f32 v[50:51], v[52:53], v[50:51]
	;; [unrolled: 2-line block ×3, first 2 shown]
	s_nop 0
	v_pk_add_f32 v[8:9], v[52:53], v[8:9] neg_lo:[0,1] neg_hi:[0,1]
	v_mul_f32_e32 v55, 0, v53
	v_pk_add_f32 v[8:9], v[50:51], v[8:9] neg_lo:[0,1] neg_hi:[0,1]
	v_pk_add_f32 v[50:51], v[52:53], v[52:53]
	v_mov_b32_e32 v56, v53
	v_pk_add_f32 v[58:59], v[50:51], 0 neg_lo:[1,1] neg_hi:[1,1]
	v_mov_b32_e32 v57, v9
	v_mov_b32_e32 v54, v59
	v_pk_fma_f32 v[54:55], v[56:57], 2.0, v[54:55] op_sel_hi:[1,0,1]
	v_mul_f32_e32 v59, 0, v52
	v_mov_b32_e32 v56, v52
	v_mov_b32_e32 v57, v8
	v_pk_fma_f32 v[8:9], v[56:57], 2.0, v[58:59] op_sel_hi:[1,0,1]
	v_mov_b32_e32 v57, v54
	v_mov_b32_e32 v56, v8
	;; [unrolled: 1-line block ×3, first 2 shown]
	v_pk_add_f32 v[8:9], v[56:57], v[54:55]
	v_cmp_class_f32_e32 vcc, v51, v10
	v_pk_fma_f32 v[54:55], v[52:53], 2.0, v[8:9] op_sel_hi:[1,0,1]
	s_nop 0
	v_cndmask_b32_e32 v51, v55, v51, vcc
	v_cmp_class_f32_e32 vcc, v50, v10
	v_pk_fma_f32 v[52:53], v[52:53], 2.0, v[54:55] op_sel_hi:[1,0,1] neg_lo:[1,0,0] neg_hi:[1,0,0]
	s_nop 0
	v_cndmask_b32_e32 v10, v54, v50, vcc
	v_mov_b32_e32 v50, 0x37000000
	v_cmp_eq_f32_e32 vcc, s6, v51
	v_pk_add_f32 v[8:9], v[8:9], v[52:53] neg_lo:[0,1] neg_hi:[0,1]
	s_nop 0
	v_cndmask_b32_e32 v50, 0, v50, vcc
	v_sub_f32_e32 v52, v51, v50
	v_mul_f32_e32 v53, 0x3fb8aa3b, v52
	v_fma_f32 v54, v52, s7, -v53
	v_rndne_f32_e32 v53, v53
	v_fmac_f32_e32 v54, 0x32a5705f, v52
	v_fma_f32 v55, v52, s7, -v53
	v_add_f32_e32 v54, v55, v54
	v_exp_f32_e32 v54, v54
	v_cvt_i32_f32_e32 v53, v53
	v_cmp_neq_f32_e64 vcc, |v51|, s2
	v_cmp_ngt_f32_e64 s[0:1], s8, v52
	s_nop 0
	v_cndmask_b32_e32 v9, 0, v9, vcc
	v_add_f32_e32 v50, v50, v9
	v_ldexp_f32 v9, v54, v53
	v_cndmask_b32_e64 v51, 0, v9, s[0:1]
	v_mov_b32_e32 v9, 0x7f800000
	v_cmp_nlt_f32_e64 s[0:1], s6, v52
	v_cmp_eq_f32_e32 vcc, s6, v10
	s_nop 0
	v_cndmask_b32_e64 v51, v9, v51, s[0:1]
	s_movk_i32 s0, 0x204
	v_fma_f32 v50, v51, v50, v51
	v_cmp_class_f32_e64 s[0:1], v51, s0
	s_nop 1
	v_cndmask_b32_e64 v50, v50, v51, s[0:1]
	s_mov_b32 s0, 0x3d372713
	.loc	1 46 61                         ; geglu_aot.py:46:61
	v_fma_f32 v50, |v50|, s0, 1.0
	.loc	1 46 81                         ; geglu_aot.py:46:81
	v_cmp_neq_f32_e64 s[0:1], |v6|, s2
                                        ; implicit-def: $vgpr51
	s_nop 1
	v_cndmask_b32_e64 v50, v9, v50, s[0:1]
	v_cmp_neq_f16_e64 s[0:1], 0, v12
	s_nop 1
	v_cndmask_b32_e64 v12, 1.0, v50, s[0:1]
	.loc	1 46 57                         ; geglu_aot.py:46:57
	v_mul_f32_e32 v50, v70, v12
	s_mov_b32 s0, 0x3f200000
	.loc	1 46 37                         ; geglu_aot.py:46:37
	v_cmp_nlt_f32_e64 s[0:1], |v50|, s0
	s_and_saveexec_b64 s[2:3], s[0:1]
	s_xor_b64 s[2:3], exec, s[2:3]
	s_cbranch_execz .LBB0_90
; %bb.89:
	v_add_f32_e64 v12, |v50|, |v50|
	v_mul_f32_e32 v51, 0x3fb8aa3b, v12
	v_fma_f32 v52, v12, s7, -v51
	v_rndne_f32_e32 v51, v51
	v_fmac_f32_e32 v52, 0x32a5705f, v12
	v_fma_f32 v53, v12, s7, -v51
	v_add_f32_e32 v52, v53, v52
	v_cvt_i32_f32_e32 v51, v51
	v_exp_f32_e32 v52, v52
	v_cmp_ngt_f32_e64 s[0:1], s8, v12
	v_ldexp_f32 v51, v52, v51
	s_nop 0
	v_cndmask_b32_e64 v51, 0, v51, s[0:1]
	v_cmp_nlt_f32_e64 s[0:1], s6, v12
	s_nop 1
	v_cndmask_b32_e64 v9, v9, v51, s[0:1]
	v_add_f32_e32 v9, 1.0, v9
	v_rcp_f32_e32 v9, v9
	s_nop 0
	v_fma_f32 v51, v9, -2.0, 1.0
.LBB0_90:                               ; %Flow9
	.loc	1 0 37                          ; geglu_aot.py:0:37
	s_or_saveexec_b64 s[0:1], s[2:3]
	.loc	1 46 0                          ; geglu_aot.py:46
	v_and_b32_e32 v9, 0x7fffffff, v7
	s_xor_b64 exec, exec, s[0:1]
; %bb.91:
	.loc	1 46 37                         ; geglu_aot.py:46:37
	v_mul_f32_e32 v12, v50, v50
	v_mov_b32_e32 v51, 0x3ca908c9
	v_fmac_f32_e32 v51, 0xbbbac73d, v12
	v_fmaak_f32 v51, v12, v51, 0xbd5c1c4e
	v_fmaak_f32 v51, v12, v51, 0x3e088382
	;; [unrolled: 1-line block ×3, first 2 shown]
	v_mul_f32_e64 v51, |v50|, v51
	v_fma_f32 v51, v12, v51, |v50|
; %bb.92:                               ; %__ocml_tanh_f32.exit6
	.loc	1 0 37                          ; geglu_aot.py:0:37
	s_or_b64 exec, exec, s[0:1]
	.loc	1 46 81                         ; geglu_aot.py:46:81
	v_mov_b32_e32 v52, 0x37000000
	v_cndmask_b32_e32 v52, 0, v52, vcc
	v_sub_f32_e32 v53, v10, v52
	s_mov_b32 s2, 0x3fb8aa3b
	v_mul_f32_e32 v54, 0x3fb8aa3b, v53
	v_fma_f32 v55, v53, s2, -v54
	v_rndne_f32_e32 v54, v54
	v_fmac_f32_e32 v55, 0x32a5705f, v53
	v_fma_f32 v56, v53, s2, -v54
	v_add_f32_e32 v55, v56, v55
	v_exp_f32_e32 v55, v55
	v_cvt_i32_f32_e32 v54, v54
	s_mov_b32 s0, 0x7f800000
	v_cmp_neq_f32_e64 vcc, |v10|, s0
	s_mov_b32 s3, 0xc2ce8ed0
	s_movk_i32 s1, 0x204
	v_cndmask_b32_e32 v8, 0, v8, vcc
	v_add_f32_e32 v10, v52, v8
	v_ldexp_f32 v8, v55, v54
	v_cmp_ngt_f32_e32 vcc, s3, v53
	.loc	1 46 50                         ; geglu_aot.py:46:50
	v_mul_f32_e32 v12, 0x3f4c422a, v7
	.loc	1 46 81                         ; geglu_aot.py:46:81
	s_nop 0
	v_cndmask_b32_e32 v52, 0, v8, vcc
	v_mov_b32_e32 v8, 0x7f800000
	v_cmp_nlt_f32_e32 vcc, s6, v53
                                        ; implicit-def: $vgpr53
	s_nop 1
	v_cndmask_b32_e32 v52, v8, v52, vcc
	v_fma_f32 v10, v52, v10, v52
	v_cmp_class_f32_e64 vcc, v52, s1
	s_mov_b32 s1, 0x3d372713
	s_nop 0
	v_cndmask_b32_e32 v10, v10, v52, vcc
	.loc	1 46 61                         ; geglu_aot.py:46:61
	v_fma_f32 v10, |v10|, s1, 1.0
	.loc	1 46 81                         ; geglu_aot.py:46:81
	v_cmp_neq_f32_e32 vcc, s0, v9
	s_mov_b32 s0, 0x3f200000
	s_nop 0
	v_cndmask_b32_e32 v9, v8, v10, vcc
	v_cmp_neq_f16_e32 vcc, 0, v11
	s_nop 1
	v_cndmask_b32_e32 v9, 1.0, v9, vcc
	.loc	1 46 57                         ; geglu_aot.py:46:57
	v_mul_f32_e32 v52, v12, v9
	.loc	1 46 37                         ; geglu_aot.py:46:37
	v_cmp_nlt_f32_e64 s[0:1], |v52|, s0
	s_and_saveexec_b64 s[8:9], s[0:1]
	s_xor_b64 s[0:1], exec, s[8:9]
	s_cbranch_execz .LBB0_94
; %bb.93:
	v_add_f32_e64 v9, |v52|, |v52|
	v_mul_f32_e32 v10, 0x3fb8aa3b, v9
	v_fma_f32 v11, v9, s2, -v10
	v_rndne_f32_e32 v10, v10
	v_fmac_f32_e32 v11, 0x32a5705f, v9
	v_fma_f32 v12, v9, s2, -v10
	v_add_f32_e32 v11, v12, v11
	v_cvt_i32_f32_e32 v10, v10
	v_exp_f32_e32 v11, v11
	v_cmp_ngt_f32_e32 vcc, s3, v9
	v_ldexp_f32 v10, v11, v10
	s_nop 0
	v_cndmask_b32_e32 v10, 0, v10, vcc
	v_cmp_nlt_f32_e32 vcc, s6, v9
	s_nop 1
	v_cndmask_b32_e32 v8, v8, v10, vcc
	v_add_f32_e32 v8, 1.0, v8
	v_rcp_f32_e32 v8, v8
	s_nop 0
	v_fma_f32 v53, v8, -2.0, 1.0
.LBB0_94:                               ; %Flow8
	.loc	1 0 37                          ; geglu_aot.py:0:37
	s_andn2_saveexec_b64 s[0:1], s[0:1]
; %bb.95:
	.loc	1 46 37 is_stmt 1               ; geglu_aot.py:46:37
	v_mul_f32_e32 v8, v52, v52
	v_mov_b32_e32 v9, 0x3ca908c9
	v_fmac_f32_e32 v9, 0xbbbac73d, v8
	v_fmaak_f32 v9, v8, v9, 0xbd5c1c4e
	v_fmaak_f32 v9, v8, v9, 0x3e088382
	;; [unrolled: 1-line block ×3, first 2 shown]
	v_mul_f32_e64 v9, |v52|, v9
	v_fma_f32 v53, v8, v9, |v52|
; %bb.96:                               ; %__ocml_tanh_f32.exit7
	.loc	1 0 37 is_stmt 0                ; geglu_aot.py:0:37
	s_or_b64 exec, exec, s[0:1]
	.loc	1 43 56 is_stmt 1               ; geglu_aot.py:43:56
	v_cvt_f32_f16_e32 v8, v14
	s_mov_b32 s2, 0x3f2aaaab
	v_mov_b32_e32 v70, 0x3e91f4c4
	s_mov_b32 s0, 0x3f317218
	.loc	1 46 81                         ; geglu_aot.py:46:81
	v_frexp_mant_f32_e64 v10, |v8|
	v_cmp_gt_f32_e32 vcc, s2, v10
	s_mov_b32 s1, 2.0
	.loc	1 43 56                         ; geglu_aot.py:43:56
	v_cvt_f32_f16_e32 v9, v13
	.loc	1 46 81                         ; geglu_aot.py:46:81
	v_cndmask_b32_e64 v11, 1.0, 2.0, vcc
	v_fma_f32 v12, v10, v11, 1.0
	v_rcp_f32_e32 v55, v12
	v_add_f32_e32 v54, -1.0, v12
	v_fma_f32 v57, v10, v11, -v54
	v_fma_f32 v11, v10, v11, -1.0
	v_mul_f32_e32 v54, v11, v55
	v_mul_f32_e32 v56, v12, v54
	v_fma_f32 v58, v54, v12, -v56
	v_fmac_f32_e32 v58, v54, v57
	v_fma_f32 v10, v12, v54, v58
	v_sub_f32_e32 v57, v11, v10
	v_pk_add_f32 v[60:61], v[10:11], v[56:57] neg_lo:[0,1] neg_hi:[0,1]
	v_mov_b32_e32 v59, v10
	v_pk_add_f32 v[58:59], v[60:61], v[58:59] neg_lo:[0,1] neg_hi:[0,1]
	v_mov_b32_e32 v71, 0x3ecccdef
	v_add_f32_e32 v10, v58, v59
	v_add_f32_e32 v10, v57, v10
	v_fmac_f32_e32 v54, v55, v10
	v_fma_f32 v11, -v11, v55, v54
	v_fma_f32 v12, v55, v10, -v11
	v_mul_f32_e32 v11, v54, v54
	v_add_f32_e32 v10, v12, v12
	v_fma_f32 v11, v54, v54, -v11
	v_fmac_f32_e32 v11, v54, v10
	v_fma_f32 v10, v54, v54, v11
	v_fma_f32 v55, -v54, v54, v10
	v_sub_f32_e32 v62, v11, v55
	v_fmamk_f32 v11, v10, 0x3e76c4e1, v70
	v_fmaak_f32 v11, v10, v11, 0x3ecccdef
	v_mul_f32_e32 v55, v10, v11
	v_fma_f32 v55, v10, v11, -v55
	v_fmac_f32_e32 v55, v62, v11
	v_fma_f32 v56, v10, v11, v55
	v_fma_f32 v11, -v10, v11, v56
	v_add_f32_e32 v57, 0x3f2aaaaa, v56
	v_sub_f32_e32 v11, v55, v11
	v_add_f32_e32 v55, 0x31739010, v11
	v_add_f32_e32 v11, 0xbf2aaaaa, v57
	v_sub_f32_e32 v11, v56, v11
	v_pk_mul_f32 v[58:59], v[54:55], v[10:11]
	v_pk_add_f32 v[60:61], v[54:55], v[10:11]
	v_fma_f32 v56, v10, v54, -v58
	v_fmac_f32_e32 v56, v10, v12
	v_mov_b32_e32 v59, v61
	v_fmac_f32_e32 v56, v62, v54
	v_pk_add_f32 v[58:59], v[58:59], v[56:57]
	s_mov_b32 s8, 0xc2ce8ed0
	v_pk_fma_f32 v[10:11], v[54:55], v[10:11], v[58:59] neg_lo:[1,0,0] neg_hi:[1,0,0]
	v_mul_f32_e32 v55, v58, v59
	v_sub_f32_e32 v11, v57, v59
	v_sub_f32_e32 v10, v56, v10
	v_add_f32_e32 v11, v61, v11
	v_fma_f32 v56, v58, v59, -v55
	v_fmac_f32_e32 v56, v58, v11
	v_fmac_f32_e32 v56, v10, v59
	v_cvt_f64_f32_e64 v[10:11], |v8|
	v_frexp_exp_i32_f64_e32 v10, v[10:11]
	v_subbrev_co_u32_e32 v10, vcc, 0, v10, vcc
	v_cvt_f32_i32_e32 v10, v10
	v_fma_f32 v55, v58, v59, v56
	v_fma_f32 v11, -v58, v59, v55
	v_sub_f32_e32 v60, v56, v11
	v_mov_b32_e32 v11, v54
	v_pk_mul_f32 v[56:57], v[10:11], s[0:1]
	v_fmac_f32_e32 v60, 2.0, v12
	v_fma_f32 v54, v10, s0, -v56
	v_fmac_f32_e32 v54, 0xb102e308, v10
	v_pk_fma_f32 v[58:59], v[10:11], s[0:1], v[54:55]
	.loc	1 46 50 is_stmt 0               ; geglu_aot.py:46:50
	v_mul_f32_e32 v74, 0x3f4c422a, v8
	.loc	1 46 81                         ; geglu_aot.py:46:81
	v_pk_fma_f32 v[10:11], v[10:11], s[0:1], v[58:59] neg_lo:[1,0,0] neg_hi:[1,0,0]
	s_nop 0
	v_sub_f32_e32 v11, v55, v11
	v_add_f32_e32 v57, v60, v11
	v_pk_add_f32 v[60:61], v[58:59], v[56:57]
	v_mov_b32_e32 v55, v58
	v_mov_b32_e32 v11, v61
	v_pk_add_f32 v[62:63], v[54:55], v[10:11] neg_lo:[0,1] neg_hi:[0,1]
	v_pk_add_f32 v[10:11], v[54:55], v[10:11]
	v_mov_b32_e32 v56, v57
	v_pk_add_f32 v[54:55], v[10:11], v[58:59] op_sel:[1,0] op_sel_hi:[0,1] neg_lo:[0,1] neg_hi:[0,1]
	v_pk_add_f32 v[64:65], v[60:61], v[54:55] op_sel_hi:[1,0] neg_lo:[0,1] neg_hi:[0,1]
	v_mov_b32_e32 v10, v61
	v_pk_mov_b32 v[54:55], v[58:59], v[54:55] op_sel:[1,0]
	v_mov_b32_e32 v57, v58
	v_pk_add_f32 v[54:55], v[10:11], v[54:55] neg_lo:[0,1] neg_hi:[0,1]
	v_frexp_mant_f32_e64 v10, |v9|
	v_cmp_gt_f32_e32 vcc, s2, v10
	v_pk_add_f32 v[54:55], v[56:57], v[54:55] neg_lo:[0,1] neg_hi:[0,1]
	v_mov_b32_e32 v64, v62
	v_cndmask_b32_e64 v12, 1.0, 2.0, vcc
	v_pk_add_f32 v[56:57], v[64:65], v[54:55]
	v_fma_f32 v55, v10, v12, 1.0
	v_rcp_f32_e32 v61, v55
	v_fma_f32 v59, v10, v12, -1.0
	v_add_f32_e32 v58, -1.0, v55
	v_fma_f32 v58, v10, v12, -v58
	v_mul_f32_e32 v60, v59, v61
	v_mul_f32_e32 v64, v55, v60
	v_fma_f32 v66, v60, v55, -v64
	v_fmac_f32_e32 v66, v60, v58
	v_fma_f32 v58, v55, v60, v66
	v_sub_f32_e32 v65, v59, v58
	v_pk_add_f32 v[68:69], v[58:59], v[64:65] neg_lo:[0,1] neg_hi:[0,1]
	v_mov_b32_e32 v67, v58
	v_pk_add_f32 v[66:67], v[68:69], v[66:67] neg_lo:[0,1] neg_hi:[0,1]
	v_mov_b32_e32 v63, v11
	v_add_f32_e32 v10, v66, v67
	v_add_f32_e32 v10, v65, v10
	v_fmac_f32_e32 v60, v61, v10
	v_fma_f32 v12, -v59, v61, v60
	v_fma_f32 v10, v61, v10, -v12
	v_mul_f32_e32 v55, v60, v60
	v_add_f32_e32 v12, v10, v10
	v_fma_f32 v55, v60, v60, -v55
	v_fmac_f32_e32 v55, v60, v12
	v_fma_f32 v58, v60, v60, v55
	v_fmac_f32_e32 v70, 0x3e76c4e1, v58
	v_fma_f32 v12, -v60, v60, v58
	v_fmac_f32_e32 v71, v58, v70
	v_sub_f32_e32 v12, v55, v12
	v_mul_f32_e32 v55, v58, v71
	v_fma_f32 v55, v58, v71, -v55
	v_fmac_f32_e32 v55, v12, v71
	v_fma_f32 v59, v58, v71, v55
	v_fma_f32 v61, -v58, v71, v59
	v_add_f32_e32 v65, 0x3f2aaaaa, v59
	v_sub_f32_e32 v55, v55, v61
	v_add_f32_e32 v61, 0x31739010, v55
	v_add_f32_e32 v55, 0xbf2aaaaa, v65
	v_sub_f32_e32 v59, v59, v55
	v_pk_mul_f32 v[66:67], v[60:61], v[58:59]
	v_pk_add_f32 v[68:69], v[60:61], v[58:59]
	v_fma_f32 v64, v58, v60, -v66
	v_fmac_f32_e32 v64, v58, v10
	v_mov_b32_e32 v67, v69
	v_fmac_f32_e32 v64, v12, v60
	v_pk_add_f32 v[66:67], v[66:67], v[64:65]
	s_mov_b32 s2, 0x7f800000
	v_pk_fma_f32 v[58:59], v[60:61], v[58:59], v[66:67] neg_lo:[1,0,0] neg_hi:[1,0,0]
	v_sub_f32_e32 v55, v65, v67
	v_sub_f32_e32 v12, v64, v58
	v_mul_f32_e32 v58, v66, v67
	v_add_f32_e32 v55, v69, v55
	v_fma_f32 v64, v66, v67, -v58
	v_fmac_f32_e32 v64, v66, v55
	v_cvt_f64_f32_e64 v[58:59], |v9|
	v_fmac_f32_e32 v64, v12, v67
	v_frexp_exp_i32_f64_e32 v12, v[58:59]
	v_subbrev_co_u32_e32 v12, vcc, 0, v12, vcc
	v_cvt_f32_i32_e32 v58, v12
	v_fma_f32 v61, v66, v67, v64
	v_fma_f32 v12, -v66, v67, v61
	v_mov_b32_e32 v59, v60
	v_sub_f32_e32 v12, v64, v12
	v_pk_mul_f32 v[64:65], v[58:59], s[0:1]
	v_fmac_f32_e32 v12, 2.0, v10
	v_fma_f32 v60, v58, s0, -v64
	v_fmac_f32_e32 v60, 0xb102e308, v58
	v_pk_fma_f32 v[66:67], v[58:59], s[0:1], v[60:61]
	s_nop 0
	v_pk_fma_f32 v[58:59], v[58:59], s[0:1], v[66:67] neg_lo:[1,0,0] neg_hi:[1,0,0]
	s_nop 0
	v_sub_f32_e32 v10, v61, v59
	v_add_f32_e32 v65, v12, v10
	v_pk_add_f32 v[68:69], v[66:67], v[64:65]
	v_mov_b32_e32 v61, v66
	v_mov_b32_e32 v59, v69
	v_pk_add_f32 v[70:71], v[60:61], v[58:59] neg_lo:[0,1] neg_hi:[0,1]
	v_pk_add_f32 v[58:59], v[60:61], v[58:59]
	v_mov_b32_e32 v64, v65
	v_pk_add_f32 v[60:61], v[58:59], v[66:67] op_sel:[1,0] op_sel_hi:[0,1] neg_lo:[0,1] neg_hi:[0,1]
	v_pk_add_f32 v[72:73], v[68:69], v[60:61] op_sel_hi:[1,0] neg_lo:[0,1] neg_hi:[0,1]
	v_mov_b32_e32 v58, v69
	v_pk_mov_b32 v[60:61], v[66:67], v[60:61] op_sel:[1,0]
	v_mov_b32_e32 v65, v66
	v_pk_add_f32 v[60:61], v[58:59], v[60:61] neg_lo:[0,1] neg_hi:[0,1]
	v_mov_b32_e32 v72, v70
	v_pk_add_f32 v[60:61], v[64:65], v[60:61] neg_lo:[0,1] neg_hi:[0,1]
	v_mov_b32_e32 v67, v56
	v_pk_add_f32 v[64:65], v[72:73], v[60:61]
	v_mov_b32_e32 v69, v57
	v_mov_b32_e32 v66, v64
	;; [unrolled: 1-line block ×3, first 2 shown]
	v_pk_add_f32 v[68:69], v[66:67], v[68:69]
	v_mov_b32_e32 v10, v59
	v_pk_add_f32 v[10:11], v[10:11], v[68:69]
	v_mov_b32_e32 v71, v59
	v_mov_b32_e32 v57, v11
	v_mov_b32_e32 v65, v10
	v_pk_add_f32 v[56:57], v[56:57], v[62:63] neg_lo:[0,1] neg_hi:[0,1]
	v_pk_add_f32 v[58:59], v[64:65], v[70:71] neg_lo:[0,1] neg_hi:[0,1]
	v_mov_b32_e32 v55, v69
	v_mov_b32_e32 v64, v58
	;; [unrolled: 1-line block ×4, first 2 shown]
	v_pk_add_f32 v[54:55], v[54:55], v[56:57] neg_lo:[0,1] neg_hi:[0,1]
	v_pk_add_f32 v[56:57], v[66:67], v[64:65] neg_lo:[0,1] neg_hi:[0,1]
	v_mov_b32_e32 v71, v62
	v_pk_add_f32 v[58:59], v[60:61], v[58:59] neg_lo:[0,1] neg_hi:[0,1]
	v_pk_add_f32 v[56:57], v[70:71], v[56:57] neg_lo:[0,1] neg_hi:[0,1]
	v_mov_b32_e32 v60, v58
	v_mov_b32_e32 v61, v54
	v_pk_add_f32 v[56:57], v[60:61], v[56:57]
	v_mov_b32_e32 v54, v59
	v_pk_add_f32 v[54:55], v[56:57], v[54:55]
	;; [unrolled: 2-line block ×3, first 2 shown]
	s_nop 0
	v_pk_add_f32 v[10:11], v[56:57], v[10:11] neg_lo:[0,1] neg_hi:[0,1]
	v_mul_f32_e32 v59, 0, v57
	v_pk_add_f32 v[10:11], v[54:55], v[10:11] neg_lo:[0,1] neg_hi:[0,1]
	v_pk_add_f32 v[54:55], v[56:57], v[56:57]
	v_mov_b32_e32 v60, v57
	v_pk_add_f32 v[62:63], v[54:55], 0 neg_lo:[1,1] neg_hi:[1,1]
	v_mov_b32_e32 v61, v11
	v_mov_b32_e32 v58, v63
	v_pk_fma_f32 v[58:59], v[60:61], 2.0, v[58:59] op_sel_hi:[1,0,1]
	v_mul_f32_e32 v63, 0, v56
	v_mov_b32_e32 v60, v56
	v_mov_b32_e32 v61, v10
	v_pk_fma_f32 v[10:11], v[60:61], 2.0, v[62:63] op_sel_hi:[1,0,1]
	v_mov_b32_e32 v61, v58
	v_mov_b32_e32 v60, v10
	;; [unrolled: 1-line block ×3, first 2 shown]
	v_pk_add_f32 v[10:11], v[60:61], v[58:59]
	v_cmp_class_f32_e32 vcc, v55, v12
	v_pk_fma_f32 v[58:59], v[56:57], 2.0, v[10:11] op_sel_hi:[1,0,1]
	s_nop 0
	v_cndmask_b32_e32 v55, v59, v55, vcc
	v_cmp_class_f32_e32 vcc, v54, v12
	v_pk_fma_f32 v[56:57], v[56:57], 2.0, v[58:59] op_sel_hi:[1,0,1] neg_lo:[1,0,0] neg_hi:[1,0,0]
	s_nop 0
	v_cndmask_b32_e32 v12, v58, v54, vcc
	v_mov_b32_e32 v54, 0x37000000
	v_cmp_eq_f32_e32 vcc, s6, v55
	v_pk_add_f32 v[10:11], v[10:11], v[56:57] neg_lo:[0,1] neg_hi:[0,1]
	s_nop 0
	v_cndmask_b32_e32 v54, 0, v54, vcc
	v_sub_f32_e32 v56, v55, v54
	v_mul_f32_e32 v57, 0x3fb8aa3b, v56
	v_fma_f32 v58, v56, s7, -v57
	v_rndne_f32_e32 v57, v57
	v_fmac_f32_e32 v58, 0x32a5705f, v56
	v_fma_f32 v59, v56, s7, -v57
	v_add_f32_e32 v58, v59, v58
	v_exp_f32_e32 v58, v58
	v_cvt_i32_f32_e32 v57, v57
	v_cmp_neq_f32_e64 vcc, |v55|, s2
	v_cmp_ngt_f32_e64 s[0:1], s8, v56
	s_nop 0
	v_cndmask_b32_e32 v11, 0, v11, vcc
	v_add_f32_e32 v54, v54, v11
	v_ldexp_f32 v11, v58, v57
	v_cndmask_b32_e64 v55, 0, v11, s[0:1]
	v_mov_b32_e32 v11, 0x7f800000
	v_cmp_nlt_f32_e64 s[0:1], s6, v56
	v_cmp_eq_f32_e32 vcc, s6, v12
	s_nop 0
	v_cndmask_b32_e64 v55, v11, v55, s[0:1]
	s_movk_i32 s0, 0x204
	v_fma_f32 v54, v55, v54, v55
	v_cmp_class_f32_e64 s[0:1], v55, s0
	s_nop 1
	v_cndmask_b32_e64 v54, v54, v55, s[0:1]
	s_mov_b32 s0, 0x3d372713
	.loc	1 46 61                         ; geglu_aot.py:46:61
	v_fma_f32 v54, |v54|, s0, 1.0
	.loc	1 46 81                         ; geglu_aot.py:46:81
	v_cmp_neq_f32_e64 s[0:1], |v8|, s2
                                        ; implicit-def: $vgpr55
	s_nop 1
	v_cndmask_b32_e64 v54, v11, v54, s[0:1]
	v_cmp_neq_f16_e64 s[0:1], 0, v14
	s_nop 1
	v_cndmask_b32_e64 v14, 1.0, v54, s[0:1]
	.loc	1 46 57                         ; geglu_aot.py:46:57
	v_mul_f32_e32 v54, v74, v14
	s_mov_b32 s0, 0x3f200000
	.loc	1 46 37                         ; geglu_aot.py:46:37
	v_cmp_nlt_f32_e64 s[0:1], |v54|, s0
	s_and_saveexec_b64 s[2:3], s[0:1]
	s_xor_b64 s[2:3], exec, s[2:3]
	s_cbranch_execz .LBB0_98
; %bb.97:
	v_add_f32_e64 v14, |v54|, |v54|
	v_mul_f32_e32 v55, 0x3fb8aa3b, v14
	v_fma_f32 v56, v14, s7, -v55
	v_rndne_f32_e32 v55, v55
	v_fmac_f32_e32 v56, 0x32a5705f, v14
	v_fma_f32 v57, v14, s7, -v55
	v_add_f32_e32 v56, v57, v56
	v_cvt_i32_f32_e32 v55, v55
	v_exp_f32_e32 v56, v56
	v_cmp_ngt_f32_e64 s[0:1], s8, v14
	v_ldexp_f32 v55, v56, v55
	s_nop 0
	v_cndmask_b32_e64 v55, 0, v55, s[0:1]
	v_cmp_nlt_f32_e64 s[0:1], s6, v14
	s_nop 1
	v_cndmask_b32_e64 v11, v11, v55, s[0:1]
	v_add_f32_e32 v11, 1.0, v11
	v_rcp_f32_e32 v11, v11
	s_nop 0
	v_fma_f32 v55, v11, -2.0, 1.0
.LBB0_98:                               ; %Flow7
	.loc	1 0 37                          ; geglu_aot.py:0:37
	s_or_saveexec_b64 s[0:1], s[2:3]
	.loc	1 46 0                          ; geglu_aot.py:46
	v_and_b32_e32 v11, 0x7fffffff, v9
	s_xor_b64 exec, exec, s[0:1]
; %bb.99:
	.loc	1 46 37                         ; geglu_aot.py:46:37
	v_mul_f32_e32 v14, v54, v54
	v_mov_b32_e32 v55, 0x3ca908c9
	v_fmac_f32_e32 v55, 0xbbbac73d, v14
	v_fmaak_f32 v55, v14, v55, 0xbd5c1c4e
	v_fmaak_f32 v55, v14, v55, 0x3e088382
	;; [unrolled: 1-line block ×3, first 2 shown]
	v_mul_f32_e64 v55, |v54|, v55
	v_fma_f32 v55, v14, v55, |v54|
; %bb.100:                              ; %__ocml_tanh_f32.exit8
	.loc	1 0 37                          ; geglu_aot.py:0:37
	s_or_b64 exec, exec, s[0:1]
	.loc	1 46 81                         ; geglu_aot.py:46:81
	v_mov_b32_e32 v56, 0x37000000
	v_cndmask_b32_e32 v56, 0, v56, vcc
	v_sub_f32_e32 v57, v12, v56
	s_mov_b32 s2, 0x3fb8aa3b
	v_mul_f32_e32 v58, 0x3fb8aa3b, v57
	v_fma_f32 v59, v57, s2, -v58
	v_rndne_f32_e32 v58, v58
	v_fmac_f32_e32 v59, 0x32a5705f, v57
	v_fma_f32 v60, v57, s2, -v58
	v_add_f32_e32 v59, v60, v59
	v_exp_f32_e32 v59, v59
	v_cvt_i32_f32_e32 v58, v58
	s_mov_b32 s0, 0x7f800000
	v_cmp_neq_f32_e64 vcc, |v12|, s0
	s_mov_b32 s3, 0xc2ce8ed0
	s_movk_i32 s1, 0x204
	v_cndmask_b32_e32 v10, 0, v10, vcc
	v_add_f32_e32 v12, v56, v10
	v_ldexp_f32 v10, v59, v58
	v_cmp_ngt_f32_e32 vcc, s3, v57
	.loc	1 46 50                         ; geglu_aot.py:46:50
	v_mul_f32_e32 v14, 0x3f4c422a, v9
	.loc	1 46 81                         ; geglu_aot.py:46:81
	s_nop 0
	v_cndmask_b32_e32 v56, 0, v10, vcc
	v_mov_b32_e32 v10, 0x7f800000
	v_cmp_nlt_f32_e32 vcc, s6, v57
                                        ; implicit-def: $vgpr57
	s_nop 1
	v_cndmask_b32_e32 v56, v10, v56, vcc
	v_fma_f32 v12, v56, v12, v56
	v_cmp_class_f32_e64 vcc, v56, s1
	s_mov_b32 s1, 0x3d372713
	s_nop 0
	v_cndmask_b32_e32 v12, v12, v56, vcc
	.loc	1 46 61                         ; geglu_aot.py:46:61
	v_fma_f32 v12, |v12|, s1, 1.0
	.loc	1 46 81                         ; geglu_aot.py:46:81
	v_cmp_neq_f32_e32 vcc, s0, v11
	s_mov_b32 s0, 0x3f200000
	s_nop 0
	v_cndmask_b32_e32 v11, v10, v12, vcc
	v_cmp_neq_f16_e32 vcc, 0, v13
	s_nop 1
	v_cndmask_b32_e32 v11, 1.0, v11, vcc
	.loc	1 46 57                         ; geglu_aot.py:46:57
	v_mul_f32_e32 v56, v14, v11
	.loc	1 46 37                         ; geglu_aot.py:46:37
	v_cmp_nlt_f32_e64 s[0:1], |v56|, s0
	s_and_saveexec_b64 s[8:9], s[0:1]
	s_xor_b64 s[0:1], exec, s[8:9]
	s_cbranch_execz .LBB0_102
; %bb.101:
	v_add_f32_e64 v11, |v56|, |v56|
	v_mul_f32_e32 v12, 0x3fb8aa3b, v11
	v_fma_f32 v13, v11, s2, -v12
	v_rndne_f32_e32 v12, v12
	v_fmac_f32_e32 v13, 0x32a5705f, v11
	v_fma_f32 v14, v11, s2, -v12
	v_add_f32_e32 v13, v14, v13
	v_cvt_i32_f32_e32 v12, v12
	v_exp_f32_e32 v13, v13
	v_cmp_ngt_f32_e32 vcc, s3, v11
	v_ldexp_f32 v12, v13, v12
	s_nop 0
	v_cndmask_b32_e32 v12, 0, v12, vcc
	v_cmp_nlt_f32_e32 vcc, s6, v11
	s_nop 1
	v_cndmask_b32_e32 v10, v10, v12, vcc
	v_add_f32_e32 v10, 1.0, v10
	v_rcp_f32_e32 v10, v10
	s_nop 0
	v_fma_f32 v57, v10, -2.0, 1.0
.LBB0_102:                              ; %Flow6
	.loc	1 0 37                          ; geglu_aot.py:0:37
	s_andn2_saveexec_b64 s[0:1], s[0:1]
; %bb.103:
	.loc	1 46 37 is_stmt 1               ; geglu_aot.py:46:37
	v_mul_f32_e32 v10, v56, v56
	v_mov_b32_e32 v11, 0x3ca908c9
	v_fmac_f32_e32 v11, 0xbbbac73d, v10
	v_fmaak_f32 v11, v10, v11, 0xbd5c1c4e
	v_fmaak_f32 v11, v10, v11, 0x3e088382
	;; [unrolled: 1-line block ×3, first 2 shown]
	v_mul_f32_e64 v11, |v56|, v11
	v_fma_f32 v57, v10, v11, |v56|
; %bb.104:                              ; %__ocml_tanh_f32.exit9
	.loc	1 0 37 is_stmt 0                ; geglu_aot.py:0:37
	s_or_b64 exec, exec, s[0:1]
	.loc	1 43 56 is_stmt 1               ; geglu_aot.py:43:56
	v_cvt_f32_f16_e32 v10, v16
	s_mov_b32 s2, 0x3f2aaaab
	v_mov_b32_e32 v74, 0x3e91f4c4
	s_mov_b32 s0, 0x3f317218
	.loc	1 46 81                         ; geglu_aot.py:46:81
	v_frexp_mant_f32_e64 v12, |v10|
	v_cmp_gt_f32_e32 vcc, s2, v12
	s_mov_b32 s1, 2.0
	.loc	1 43 56                         ; geglu_aot.py:43:56
	v_cvt_f32_f16_e32 v11, v15
	.loc	1 46 81                         ; geglu_aot.py:46:81
	v_cndmask_b32_e64 v13, 1.0, 2.0, vcc
	v_fma_f32 v14, v12, v13, 1.0
	v_rcp_f32_e32 v59, v14
	v_add_f32_e32 v58, -1.0, v14
	v_fma_f32 v61, v12, v13, -v58
	v_fma_f32 v13, v12, v13, -1.0
	v_mul_f32_e32 v58, v13, v59
	v_mul_f32_e32 v60, v14, v58
	v_fma_f32 v62, v58, v14, -v60
	v_fmac_f32_e32 v62, v58, v61
	v_fma_f32 v12, v14, v58, v62
	v_sub_f32_e32 v61, v13, v12
	v_pk_add_f32 v[64:65], v[12:13], v[60:61] neg_lo:[0,1] neg_hi:[0,1]
	v_mov_b32_e32 v63, v12
	v_pk_add_f32 v[62:63], v[64:65], v[62:63] neg_lo:[0,1] neg_hi:[0,1]
	v_mov_b32_e32 v75, 0x3ecccdef
	v_add_f32_e32 v12, v62, v63
	v_add_f32_e32 v12, v61, v12
	v_fmac_f32_e32 v58, v59, v12
	v_fma_f32 v13, -v13, v59, v58
	v_fma_f32 v14, v59, v12, -v13
	v_mul_f32_e32 v13, v58, v58
	v_add_f32_e32 v12, v14, v14
	v_fma_f32 v13, v58, v58, -v13
	v_fmac_f32_e32 v13, v58, v12
	v_fma_f32 v12, v58, v58, v13
	v_fma_f32 v59, -v58, v58, v12
	v_sub_f32_e32 v66, v13, v59
	v_fmamk_f32 v13, v12, 0x3e76c4e1, v74
	v_fmaak_f32 v13, v12, v13, 0x3ecccdef
	v_mul_f32_e32 v59, v12, v13
	v_fma_f32 v59, v12, v13, -v59
	v_fmac_f32_e32 v59, v66, v13
	v_fma_f32 v60, v12, v13, v59
	v_fma_f32 v13, -v12, v13, v60
	v_add_f32_e32 v61, 0x3f2aaaaa, v60
	v_sub_f32_e32 v13, v59, v13
	v_add_f32_e32 v59, 0x31739010, v13
	v_add_f32_e32 v13, 0xbf2aaaaa, v61
	v_sub_f32_e32 v13, v60, v13
	v_pk_mul_f32 v[62:63], v[58:59], v[12:13]
	v_pk_add_f32 v[64:65], v[58:59], v[12:13]
	v_fma_f32 v60, v12, v58, -v62
	v_fmac_f32_e32 v60, v12, v14
	v_mov_b32_e32 v63, v65
	v_fmac_f32_e32 v60, v66, v58
	v_pk_add_f32 v[62:63], v[62:63], v[60:61]
	s_mov_b32 s8, 0xc2ce8ed0
	v_pk_fma_f32 v[12:13], v[58:59], v[12:13], v[62:63] neg_lo:[1,0,0] neg_hi:[1,0,0]
	v_mul_f32_e32 v59, v62, v63
	v_sub_f32_e32 v13, v61, v63
	v_sub_f32_e32 v12, v60, v12
	v_add_f32_e32 v13, v65, v13
	v_fma_f32 v60, v62, v63, -v59
	v_fmac_f32_e32 v60, v62, v13
	v_fmac_f32_e32 v60, v12, v63
	v_cvt_f64_f32_e64 v[12:13], |v10|
	v_frexp_exp_i32_f64_e32 v12, v[12:13]
	v_subbrev_co_u32_e32 v12, vcc, 0, v12, vcc
	v_cvt_f32_i32_e32 v12, v12
	v_fma_f32 v59, v62, v63, v60
	v_fma_f32 v13, -v62, v63, v59
	v_sub_f32_e32 v64, v60, v13
	v_mov_b32_e32 v13, v58
	v_pk_mul_f32 v[60:61], v[12:13], s[0:1]
	v_fmac_f32_e32 v64, 2.0, v14
	v_fma_f32 v58, v12, s0, -v60
	v_fmac_f32_e32 v58, 0xb102e308, v12
	v_pk_fma_f32 v[62:63], v[12:13], s[0:1], v[58:59]
	.loc	1 46 50 is_stmt 0               ; geglu_aot.py:46:50
	v_mul_f32_e32 v78, 0x3f4c422a, v10
	.loc	1 46 81                         ; geglu_aot.py:46:81
	v_pk_fma_f32 v[12:13], v[12:13], s[0:1], v[62:63] neg_lo:[1,0,0] neg_hi:[1,0,0]
	s_nop 0
	v_sub_f32_e32 v13, v59, v13
	v_add_f32_e32 v61, v64, v13
	v_pk_add_f32 v[64:65], v[62:63], v[60:61]
	v_mov_b32_e32 v59, v62
	v_mov_b32_e32 v13, v65
	v_pk_add_f32 v[66:67], v[58:59], v[12:13] neg_lo:[0,1] neg_hi:[0,1]
	v_pk_add_f32 v[12:13], v[58:59], v[12:13]
	v_mov_b32_e32 v60, v61
	v_pk_add_f32 v[58:59], v[12:13], v[62:63] op_sel:[1,0] op_sel_hi:[0,1] neg_lo:[0,1] neg_hi:[0,1]
	v_pk_add_f32 v[68:69], v[64:65], v[58:59] op_sel_hi:[1,0] neg_lo:[0,1] neg_hi:[0,1]
	v_mov_b32_e32 v12, v65
	v_pk_mov_b32 v[58:59], v[62:63], v[58:59] op_sel:[1,0]
	v_mov_b32_e32 v61, v62
	v_pk_add_f32 v[58:59], v[12:13], v[58:59] neg_lo:[0,1] neg_hi:[0,1]
	v_frexp_mant_f32_e64 v12, |v11|
	v_cmp_gt_f32_e32 vcc, s2, v12
	v_pk_add_f32 v[58:59], v[60:61], v[58:59] neg_lo:[0,1] neg_hi:[0,1]
	v_mov_b32_e32 v68, v66
	v_cndmask_b32_e64 v14, 1.0, 2.0, vcc
	v_pk_add_f32 v[60:61], v[68:69], v[58:59]
	v_fma_f32 v59, v12, v14, 1.0
	v_rcp_f32_e32 v65, v59
	v_fma_f32 v63, v12, v14, -1.0
	v_add_f32_e32 v62, -1.0, v59
	v_fma_f32 v62, v12, v14, -v62
	v_mul_f32_e32 v64, v63, v65
	v_mul_f32_e32 v68, v59, v64
	v_fma_f32 v70, v64, v59, -v68
	v_fmac_f32_e32 v70, v64, v62
	v_fma_f32 v62, v59, v64, v70
	v_sub_f32_e32 v69, v63, v62
	v_pk_add_f32 v[72:73], v[62:63], v[68:69] neg_lo:[0,1] neg_hi:[0,1]
	v_mov_b32_e32 v71, v62
	v_pk_add_f32 v[70:71], v[72:73], v[70:71] neg_lo:[0,1] neg_hi:[0,1]
	v_mov_b32_e32 v67, v13
	v_add_f32_e32 v12, v70, v71
	v_add_f32_e32 v12, v69, v12
	v_fmac_f32_e32 v64, v65, v12
	v_fma_f32 v14, -v63, v65, v64
	v_fma_f32 v12, v65, v12, -v14
	v_mul_f32_e32 v59, v64, v64
	v_add_f32_e32 v14, v12, v12
	v_fma_f32 v59, v64, v64, -v59
	v_fmac_f32_e32 v59, v64, v14
	v_fma_f32 v62, v64, v64, v59
	v_fmac_f32_e32 v74, 0x3e76c4e1, v62
	v_fma_f32 v14, -v64, v64, v62
	v_fmac_f32_e32 v75, v62, v74
	v_sub_f32_e32 v14, v59, v14
	v_mul_f32_e32 v59, v62, v75
	v_fma_f32 v59, v62, v75, -v59
	v_fmac_f32_e32 v59, v14, v75
	v_fma_f32 v63, v62, v75, v59
	v_fma_f32 v65, -v62, v75, v63
	v_add_f32_e32 v69, 0x3f2aaaaa, v63
	v_sub_f32_e32 v59, v59, v65
	v_add_f32_e32 v65, 0x31739010, v59
	v_add_f32_e32 v59, 0xbf2aaaaa, v69
	v_sub_f32_e32 v63, v63, v59
	v_pk_mul_f32 v[70:71], v[64:65], v[62:63]
	v_pk_add_f32 v[72:73], v[64:65], v[62:63]
	v_fma_f32 v68, v62, v64, -v70
	v_fmac_f32_e32 v68, v62, v12
	v_mov_b32_e32 v71, v73
	v_fmac_f32_e32 v68, v14, v64
	v_pk_add_f32 v[70:71], v[70:71], v[68:69]
	s_mov_b32 s2, 0x7f800000
	v_pk_fma_f32 v[62:63], v[64:65], v[62:63], v[70:71] neg_lo:[1,0,0] neg_hi:[1,0,0]
	v_sub_f32_e32 v59, v69, v71
	v_sub_f32_e32 v14, v68, v62
	v_mul_f32_e32 v62, v70, v71
	v_add_f32_e32 v59, v73, v59
	v_fma_f32 v68, v70, v71, -v62
	v_fmac_f32_e32 v68, v70, v59
	v_cvt_f64_f32_e64 v[62:63], |v11|
	v_fmac_f32_e32 v68, v14, v71
	v_frexp_exp_i32_f64_e32 v14, v[62:63]
	v_subbrev_co_u32_e32 v14, vcc, 0, v14, vcc
	v_cvt_f32_i32_e32 v62, v14
	v_fma_f32 v65, v70, v71, v68
	v_fma_f32 v14, -v70, v71, v65
	v_mov_b32_e32 v63, v64
	v_sub_f32_e32 v14, v68, v14
	v_pk_mul_f32 v[68:69], v[62:63], s[0:1]
	v_fmac_f32_e32 v14, 2.0, v12
	v_fma_f32 v64, v62, s0, -v68
	v_fmac_f32_e32 v64, 0xb102e308, v62
	v_pk_fma_f32 v[70:71], v[62:63], s[0:1], v[64:65]
	s_nop 0
	v_pk_fma_f32 v[62:63], v[62:63], s[0:1], v[70:71] neg_lo:[1,0,0] neg_hi:[1,0,0]
	s_nop 0
	v_sub_f32_e32 v12, v65, v63
	v_add_f32_e32 v69, v14, v12
	v_pk_add_f32 v[72:73], v[70:71], v[68:69]
	v_mov_b32_e32 v65, v70
	v_mov_b32_e32 v63, v73
	v_pk_add_f32 v[74:75], v[64:65], v[62:63] neg_lo:[0,1] neg_hi:[0,1]
	v_pk_add_f32 v[62:63], v[64:65], v[62:63]
	v_mov_b32_e32 v68, v69
	v_pk_add_f32 v[64:65], v[62:63], v[70:71] op_sel:[1,0] op_sel_hi:[0,1] neg_lo:[0,1] neg_hi:[0,1]
	v_pk_add_f32 v[76:77], v[72:73], v[64:65] op_sel_hi:[1,0] neg_lo:[0,1] neg_hi:[0,1]
	v_mov_b32_e32 v62, v73
	v_pk_mov_b32 v[64:65], v[70:71], v[64:65] op_sel:[1,0]
	v_mov_b32_e32 v69, v70
	v_pk_add_f32 v[64:65], v[62:63], v[64:65] neg_lo:[0,1] neg_hi:[0,1]
	v_mov_b32_e32 v76, v74
	v_pk_add_f32 v[64:65], v[68:69], v[64:65] neg_lo:[0,1] neg_hi:[0,1]
	v_mov_b32_e32 v71, v60
	v_pk_add_f32 v[68:69], v[76:77], v[64:65]
	v_mov_b32_e32 v73, v61
	v_mov_b32_e32 v70, v68
	v_mov_b32_e32 v72, v69
	v_pk_add_f32 v[72:73], v[70:71], v[72:73]
	v_mov_b32_e32 v12, v63
	v_pk_add_f32 v[12:13], v[12:13], v[72:73]
	v_mov_b32_e32 v75, v63
	v_mov_b32_e32 v61, v13
	;; [unrolled: 1-line block ×3, first 2 shown]
	v_pk_add_f32 v[60:61], v[60:61], v[66:67] neg_lo:[0,1] neg_hi:[0,1]
	v_pk_add_f32 v[62:63], v[68:69], v[74:75] neg_lo:[0,1] neg_hi:[0,1]
	v_mov_b32_e32 v59, v73
	v_mov_b32_e32 v68, v62
	;; [unrolled: 1-line block ×4, first 2 shown]
	v_pk_add_f32 v[58:59], v[58:59], v[60:61] neg_lo:[0,1] neg_hi:[0,1]
	v_pk_add_f32 v[60:61], v[70:71], v[68:69] neg_lo:[0,1] neg_hi:[0,1]
	v_mov_b32_e32 v75, v66
	v_pk_add_f32 v[62:63], v[64:65], v[62:63] neg_lo:[0,1] neg_hi:[0,1]
	v_pk_add_f32 v[60:61], v[74:75], v[60:61] neg_lo:[0,1] neg_hi:[0,1]
	v_mov_b32_e32 v64, v62
	v_mov_b32_e32 v65, v58
	v_pk_add_f32 v[60:61], v[64:65], v[60:61]
	v_mov_b32_e32 v58, v63
	v_pk_add_f32 v[58:59], v[60:61], v[58:59]
	;; [unrolled: 2-line block ×3, first 2 shown]
	s_nop 0
	v_pk_add_f32 v[12:13], v[60:61], v[12:13] neg_lo:[0,1] neg_hi:[0,1]
	v_mul_f32_e32 v63, 0, v61
	v_pk_add_f32 v[12:13], v[58:59], v[12:13] neg_lo:[0,1] neg_hi:[0,1]
	v_pk_add_f32 v[58:59], v[60:61], v[60:61]
	v_mov_b32_e32 v64, v61
	v_pk_add_f32 v[66:67], v[58:59], 0 neg_lo:[1,1] neg_hi:[1,1]
	v_mov_b32_e32 v65, v13
	v_mov_b32_e32 v62, v67
	v_pk_fma_f32 v[62:63], v[64:65], 2.0, v[62:63] op_sel_hi:[1,0,1]
	v_mul_f32_e32 v67, 0, v60
	v_mov_b32_e32 v64, v60
	v_mov_b32_e32 v65, v12
	v_pk_fma_f32 v[12:13], v[64:65], 2.0, v[66:67] op_sel_hi:[1,0,1]
	v_mov_b32_e32 v65, v62
	v_mov_b32_e32 v64, v12
	;; [unrolled: 1-line block ×3, first 2 shown]
	v_pk_add_f32 v[12:13], v[64:65], v[62:63]
	v_cmp_class_f32_e32 vcc, v59, v14
	v_pk_fma_f32 v[62:63], v[60:61], 2.0, v[12:13] op_sel_hi:[1,0,1]
	s_nop 0
	v_cndmask_b32_e32 v59, v63, v59, vcc
	v_cmp_class_f32_e32 vcc, v58, v14
	v_pk_fma_f32 v[60:61], v[60:61], 2.0, v[62:63] op_sel_hi:[1,0,1] neg_lo:[1,0,0] neg_hi:[1,0,0]
	s_nop 0
	v_cndmask_b32_e32 v14, v62, v58, vcc
	v_mov_b32_e32 v58, 0x37000000
	v_cmp_eq_f32_e32 vcc, s6, v59
	v_pk_add_f32 v[12:13], v[12:13], v[60:61] neg_lo:[0,1] neg_hi:[0,1]
	s_nop 0
	v_cndmask_b32_e32 v58, 0, v58, vcc
	v_sub_f32_e32 v60, v59, v58
	v_mul_f32_e32 v61, 0x3fb8aa3b, v60
	v_fma_f32 v62, v60, s7, -v61
	v_rndne_f32_e32 v61, v61
	v_fmac_f32_e32 v62, 0x32a5705f, v60
	v_fma_f32 v63, v60, s7, -v61
	v_add_f32_e32 v62, v63, v62
	v_exp_f32_e32 v62, v62
	v_cvt_i32_f32_e32 v61, v61
	v_cmp_neq_f32_e64 vcc, |v59|, s2
	v_cmp_ngt_f32_e64 s[0:1], s8, v60
	s_nop 0
	v_cndmask_b32_e32 v13, 0, v13, vcc
	v_add_f32_e32 v58, v58, v13
	v_ldexp_f32 v13, v62, v61
	v_cndmask_b32_e64 v59, 0, v13, s[0:1]
	v_mov_b32_e32 v13, 0x7f800000
	v_cmp_nlt_f32_e64 s[0:1], s6, v60
	v_cmp_eq_f32_e32 vcc, s6, v14
	s_nop 0
	v_cndmask_b32_e64 v59, v13, v59, s[0:1]
	s_movk_i32 s0, 0x204
	v_fma_f32 v58, v59, v58, v59
	v_cmp_class_f32_e64 s[0:1], v59, s0
	s_nop 1
	v_cndmask_b32_e64 v58, v58, v59, s[0:1]
	s_mov_b32 s0, 0x3d372713
	.loc	1 46 61                         ; geglu_aot.py:46:61
	v_fma_f32 v58, |v58|, s0, 1.0
	.loc	1 46 81                         ; geglu_aot.py:46:81
	v_cmp_neq_f32_e64 s[0:1], |v10|, s2
                                        ; implicit-def: $vgpr59
	s_nop 1
	v_cndmask_b32_e64 v58, v13, v58, s[0:1]
	v_cmp_neq_f16_e64 s[0:1], 0, v16
	s_nop 1
	v_cndmask_b32_e64 v16, 1.0, v58, s[0:1]
	.loc	1 46 57                         ; geglu_aot.py:46:57
	v_mul_f32_e32 v58, v78, v16
	s_mov_b32 s0, 0x3f200000
	.loc	1 46 37                         ; geglu_aot.py:46:37
	v_cmp_nlt_f32_e64 s[0:1], |v58|, s0
	s_and_saveexec_b64 s[2:3], s[0:1]
	s_xor_b64 s[2:3], exec, s[2:3]
	s_cbranch_execz .LBB0_106
; %bb.105:
	v_add_f32_e64 v16, |v58|, |v58|
	v_mul_f32_e32 v59, 0x3fb8aa3b, v16
	v_fma_f32 v60, v16, s7, -v59
	v_rndne_f32_e32 v59, v59
	v_fmac_f32_e32 v60, 0x32a5705f, v16
	v_fma_f32 v61, v16, s7, -v59
	v_add_f32_e32 v60, v61, v60
	v_cvt_i32_f32_e32 v59, v59
	v_exp_f32_e32 v60, v60
	v_cmp_ngt_f32_e64 s[0:1], s8, v16
	v_ldexp_f32 v59, v60, v59
	s_nop 0
	v_cndmask_b32_e64 v59, 0, v59, s[0:1]
	v_cmp_nlt_f32_e64 s[0:1], s6, v16
	s_nop 1
	v_cndmask_b32_e64 v13, v13, v59, s[0:1]
	v_add_f32_e32 v13, 1.0, v13
	v_rcp_f32_e32 v13, v13
	s_nop 0
	v_fma_f32 v59, v13, -2.0, 1.0
.LBB0_106:                              ; %Flow5
	.loc	1 0 37                          ; geglu_aot.py:0:37
	s_or_saveexec_b64 s[0:1], s[2:3]
	.loc	1 46 0                          ; geglu_aot.py:46
	v_and_b32_e32 v13, 0x7fffffff, v11
	s_xor_b64 exec, exec, s[0:1]
; %bb.107:
	.loc	1 46 37                         ; geglu_aot.py:46:37
	v_mul_f32_e32 v16, v58, v58
	v_mov_b32_e32 v59, 0x3ca908c9
	v_fmac_f32_e32 v59, 0xbbbac73d, v16
	v_fmaak_f32 v59, v16, v59, 0xbd5c1c4e
	v_fmaak_f32 v59, v16, v59, 0x3e088382
	;; [unrolled: 1-line block ×3, first 2 shown]
	v_mul_f32_e64 v59, |v58|, v59
	v_fma_f32 v59, v16, v59, |v58|
; %bb.108:                              ; %__ocml_tanh_f32.exit10
	.loc	1 0 37                          ; geglu_aot.py:0:37
	s_or_b64 exec, exec, s[0:1]
	.loc	1 46 81                         ; geglu_aot.py:46:81
	v_mov_b32_e32 v60, 0x37000000
	v_cndmask_b32_e32 v60, 0, v60, vcc
	v_sub_f32_e32 v61, v14, v60
	s_mov_b32 s2, 0x3fb8aa3b
	v_mul_f32_e32 v62, 0x3fb8aa3b, v61
	v_fma_f32 v63, v61, s2, -v62
	v_rndne_f32_e32 v62, v62
	v_fmac_f32_e32 v63, 0x32a5705f, v61
	v_fma_f32 v64, v61, s2, -v62
	v_add_f32_e32 v63, v64, v63
	v_exp_f32_e32 v63, v63
	v_cvt_i32_f32_e32 v62, v62
	s_mov_b32 s0, 0x7f800000
	v_cmp_neq_f32_e64 vcc, |v14|, s0
	s_mov_b32 s3, 0xc2ce8ed0
	s_movk_i32 s1, 0x204
	v_cndmask_b32_e32 v12, 0, v12, vcc
	v_add_f32_e32 v14, v60, v12
	v_ldexp_f32 v12, v63, v62
	v_cmp_ngt_f32_e32 vcc, s3, v61
	.loc	1 46 50                         ; geglu_aot.py:46:50
	v_mul_f32_e32 v16, 0x3f4c422a, v11
	.loc	1 46 81                         ; geglu_aot.py:46:81
	s_nop 0
	v_cndmask_b32_e32 v60, 0, v12, vcc
	v_mov_b32_e32 v12, 0x7f800000
	v_cmp_nlt_f32_e32 vcc, s6, v61
                                        ; implicit-def: $vgpr61
	s_nop 1
	v_cndmask_b32_e32 v60, v12, v60, vcc
	v_fma_f32 v14, v60, v14, v60
	v_cmp_class_f32_e64 vcc, v60, s1
	s_mov_b32 s1, 0x3d372713
	s_nop 0
	v_cndmask_b32_e32 v14, v14, v60, vcc
	.loc	1 46 61                         ; geglu_aot.py:46:61
	v_fma_f32 v14, |v14|, s1, 1.0
	.loc	1 46 81                         ; geglu_aot.py:46:81
	v_cmp_neq_f32_e32 vcc, s0, v13
	s_mov_b32 s0, 0x3f200000
	s_nop 0
	v_cndmask_b32_e32 v13, v12, v14, vcc
	v_cmp_neq_f16_e32 vcc, 0, v15
	s_nop 1
	v_cndmask_b32_e32 v13, 1.0, v13, vcc
	.loc	1 46 57                         ; geglu_aot.py:46:57
	v_mul_f32_e32 v60, v16, v13
	.loc	1 46 37                         ; geglu_aot.py:46:37
	v_cmp_nlt_f32_e64 s[0:1], |v60|, s0
	s_and_saveexec_b64 s[8:9], s[0:1]
	s_xor_b64 s[0:1], exec, s[8:9]
	s_cbranch_execz .LBB0_110
; %bb.109:
	v_add_f32_e64 v13, |v60|, |v60|
	v_mul_f32_e32 v14, 0x3fb8aa3b, v13
	v_fma_f32 v15, v13, s2, -v14
	v_rndne_f32_e32 v14, v14
	v_fmac_f32_e32 v15, 0x32a5705f, v13
	v_fma_f32 v16, v13, s2, -v14
	v_add_f32_e32 v15, v16, v15
	v_cvt_i32_f32_e32 v14, v14
	v_exp_f32_e32 v15, v15
	v_cmp_ngt_f32_e32 vcc, s3, v13
	v_ldexp_f32 v14, v15, v14
	s_nop 0
	v_cndmask_b32_e32 v14, 0, v14, vcc
	v_cmp_nlt_f32_e32 vcc, s6, v13
	s_nop 1
	v_cndmask_b32_e32 v12, v12, v14, vcc
	v_add_f32_e32 v12, 1.0, v12
	v_rcp_f32_e32 v12, v12
	s_nop 0
	v_fma_f32 v61, v12, -2.0, 1.0
.LBB0_110:                              ; %Flow4
	.loc	1 0 37                          ; geglu_aot.py:0:37
	s_andn2_saveexec_b64 s[0:1], s[0:1]
; %bb.111:
	.loc	1 46 37 is_stmt 1               ; geglu_aot.py:46:37
	v_mul_f32_e32 v12, v60, v60
	v_mov_b32_e32 v13, 0x3ca908c9
	v_fmac_f32_e32 v13, 0xbbbac73d, v12
	v_fmaak_f32 v13, v12, v13, 0xbd5c1c4e
	v_fmaak_f32 v13, v12, v13, 0x3e088382
	;; [unrolled: 1-line block ×3, first 2 shown]
	v_mul_f32_e64 v13, |v60|, v13
	v_fma_f32 v61, v12, v13, |v60|
; %bb.112:                              ; %__ocml_tanh_f32.exit11
	.loc	1 0 37 is_stmt 0                ; geglu_aot.py:0:37
	s_or_b64 exec, exec, s[0:1]
	.loc	1 43 56 is_stmt 1               ; geglu_aot.py:43:56
	v_cvt_f32_f16_e32 v12, v18
	s_mov_b32 s2, 0x3f2aaaab
	v_mov_b32_e32 v78, 0x3e91f4c4
	s_mov_b32 s0, 0x3f317218
	.loc	1 46 81                         ; geglu_aot.py:46:81
	v_frexp_mant_f32_e64 v14, |v12|
	v_cmp_gt_f32_e32 vcc, s2, v14
	s_mov_b32 s1, 2.0
	.loc	1 43 56                         ; geglu_aot.py:43:56
	v_cvt_f32_f16_e32 v13, v17
	.loc	1 46 81                         ; geglu_aot.py:46:81
	v_cndmask_b32_e64 v15, 1.0, 2.0, vcc
	v_fma_f32 v16, v14, v15, 1.0
	v_rcp_f32_e32 v63, v16
	v_add_f32_e32 v62, -1.0, v16
	v_fma_f32 v65, v14, v15, -v62
	v_fma_f32 v15, v14, v15, -1.0
	v_mul_f32_e32 v62, v15, v63
	v_mul_f32_e32 v64, v16, v62
	v_fma_f32 v66, v62, v16, -v64
	v_fmac_f32_e32 v66, v62, v65
	v_fma_f32 v14, v16, v62, v66
	v_sub_f32_e32 v65, v15, v14
	v_pk_add_f32 v[68:69], v[14:15], v[64:65] neg_lo:[0,1] neg_hi:[0,1]
	v_mov_b32_e32 v67, v14
	v_pk_add_f32 v[66:67], v[68:69], v[66:67] neg_lo:[0,1] neg_hi:[0,1]
	v_mov_b32_e32 v79, 0x3ecccdef
	v_add_f32_e32 v14, v66, v67
	v_add_f32_e32 v14, v65, v14
	v_fmac_f32_e32 v62, v63, v14
	v_fma_f32 v15, -v15, v63, v62
	v_fma_f32 v16, v63, v14, -v15
	v_mul_f32_e32 v15, v62, v62
	v_add_f32_e32 v14, v16, v16
	v_fma_f32 v15, v62, v62, -v15
	v_fmac_f32_e32 v15, v62, v14
	v_fma_f32 v14, v62, v62, v15
	v_fma_f32 v63, -v62, v62, v14
	v_sub_f32_e32 v70, v15, v63
	v_fmamk_f32 v15, v14, 0x3e76c4e1, v78
	v_fmaak_f32 v15, v14, v15, 0x3ecccdef
	v_mul_f32_e32 v63, v14, v15
	v_fma_f32 v63, v14, v15, -v63
	v_fmac_f32_e32 v63, v70, v15
	v_fma_f32 v64, v14, v15, v63
	v_fma_f32 v15, -v14, v15, v64
	v_add_f32_e32 v65, 0x3f2aaaaa, v64
	v_sub_f32_e32 v15, v63, v15
	v_add_f32_e32 v63, 0x31739010, v15
	v_add_f32_e32 v15, 0xbf2aaaaa, v65
	v_sub_f32_e32 v15, v64, v15
	v_pk_mul_f32 v[66:67], v[62:63], v[14:15]
	v_pk_add_f32 v[68:69], v[62:63], v[14:15]
	v_fma_f32 v64, v14, v62, -v66
	v_fmac_f32_e32 v64, v14, v16
	v_mov_b32_e32 v67, v69
	v_fmac_f32_e32 v64, v70, v62
	v_pk_add_f32 v[66:67], v[66:67], v[64:65]
	s_mov_b32 s8, 0xc2ce8ed0
	v_pk_fma_f32 v[14:15], v[62:63], v[14:15], v[66:67] neg_lo:[1,0,0] neg_hi:[1,0,0]
	v_mul_f32_e32 v63, v66, v67
	v_sub_f32_e32 v15, v65, v67
	v_sub_f32_e32 v14, v64, v14
	v_add_f32_e32 v15, v69, v15
	v_fma_f32 v64, v66, v67, -v63
	v_fmac_f32_e32 v64, v66, v15
	v_fmac_f32_e32 v64, v14, v67
	v_cvt_f64_f32_e64 v[14:15], |v12|
	v_frexp_exp_i32_f64_e32 v14, v[14:15]
	v_subbrev_co_u32_e32 v14, vcc, 0, v14, vcc
	v_cvt_f32_i32_e32 v14, v14
	v_fma_f32 v63, v66, v67, v64
	v_fma_f32 v15, -v66, v67, v63
	v_sub_f32_e32 v68, v64, v15
	v_mov_b32_e32 v15, v62
	v_pk_mul_f32 v[64:65], v[14:15], s[0:1]
	v_fmac_f32_e32 v68, 2.0, v16
	v_fma_f32 v62, v14, s0, -v64
	v_fmac_f32_e32 v62, 0xb102e308, v14
	v_pk_fma_f32 v[66:67], v[14:15], s[0:1], v[62:63]
	.loc	1 46 50 is_stmt 0               ; geglu_aot.py:46:50
	v_mul_f32_e32 v82, 0x3f4c422a, v12
	.loc	1 46 81                         ; geglu_aot.py:46:81
	v_pk_fma_f32 v[14:15], v[14:15], s[0:1], v[66:67] neg_lo:[1,0,0] neg_hi:[1,0,0]
	s_nop 0
	v_sub_f32_e32 v15, v63, v15
	v_add_f32_e32 v65, v68, v15
	v_pk_add_f32 v[68:69], v[66:67], v[64:65]
	v_mov_b32_e32 v63, v66
	v_mov_b32_e32 v15, v69
	v_pk_add_f32 v[70:71], v[62:63], v[14:15] neg_lo:[0,1] neg_hi:[0,1]
	v_pk_add_f32 v[14:15], v[62:63], v[14:15]
	v_mov_b32_e32 v64, v65
	v_pk_add_f32 v[62:63], v[14:15], v[66:67] op_sel:[1,0] op_sel_hi:[0,1] neg_lo:[0,1] neg_hi:[0,1]
	v_pk_add_f32 v[72:73], v[68:69], v[62:63] op_sel_hi:[1,0] neg_lo:[0,1] neg_hi:[0,1]
	v_mov_b32_e32 v14, v69
	v_pk_mov_b32 v[62:63], v[66:67], v[62:63] op_sel:[1,0]
	v_mov_b32_e32 v65, v66
	v_pk_add_f32 v[62:63], v[14:15], v[62:63] neg_lo:[0,1] neg_hi:[0,1]
	v_frexp_mant_f32_e64 v14, |v13|
	v_cmp_gt_f32_e32 vcc, s2, v14
	v_pk_add_f32 v[62:63], v[64:65], v[62:63] neg_lo:[0,1] neg_hi:[0,1]
	v_mov_b32_e32 v72, v70
	v_cndmask_b32_e64 v16, 1.0, 2.0, vcc
	v_pk_add_f32 v[64:65], v[72:73], v[62:63]
	v_fma_f32 v63, v14, v16, 1.0
	v_rcp_f32_e32 v69, v63
	v_fma_f32 v67, v14, v16, -1.0
	v_add_f32_e32 v66, -1.0, v63
	v_fma_f32 v66, v14, v16, -v66
	v_mul_f32_e32 v68, v67, v69
	v_mul_f32_e32 v72, v63, v68
	v_fma_f32 v74, v68, v63, -v72
	v_fmac_f32_e32 v74, v68, v66
	v_fma_f32 v66, v63, v68, v74
	v_sub_f32_e32 v73, v67, v66
	v_pk_add_f32 v[76:77], v[66:67], v[72:73] neg_lo:[0,1] neg_hi:[0,1]
	v_mov_b32_e32 v75, v66
	v_pk_add_f32 v[74:75], v[76:77], v[74:75] neg_lo:[0,1] neg_hi:[0,1]
	v_mov_b32_e32 v71, v15
	v_add_f32_e32 v14, v74, v75
	v_add_f32_e32 v14, v73, v14
	v_fmac_f32_e32 v68, v69, v14
	v_fma_f32 v16, -v67, v69, v68
	v_fma_f32 v14, v69, v14, -v16
	v_mul_f32_e32 v63, v68, v68
	v_add_f32_e32 v16, v14, v14
	v_fma_f32 v63, v68, v68, -v63
	v_fmac_f32_e32 v63, v68, v16
	v_fma_f32 v66, v68, v68, v63
	v_fmac_f32_e32 v78, 0x3e76c4e1, v66
	v_fma_f32 v16, -v68, v68, v66
	v_fmac_f32_e32 v79, v66, v78
	v_sub_f32_e32 v16, v63, v16
	v_mul_f32_e32 v63, v66, v79
	v_fma_f32 v63, v66, v79, -v63
	v_fmac_f32_e32 v63, v16, v79
	v_fma_f32 v67, v66, v79, v63
	v_fma_f32 v69, -v66, v79, v67
	v_add_f32_e32 v73, 0x3f2aaaaa, v67
	v_sub_f32_e32 v63, v63, v69
	v_add_f32_e32 v69, 0x31739010, v63
	v_add_f32_e32 v63, 0xbf2aaaaa, v73
	v_sub_f32_e32 v67, v67, v63
	v_pk_mul_f32 v[74:75], v[68:69], v[66:67]
	v_pk_add_f32 v[76:77], v[68:69], v[66:67]
	v_fma_f32 v72, v66, v68, -v74
	v_fmac_f32_e32 v72, v66, v14
	v_mov_b32_e32 v75, v77
	v_fmac_f32_e32 v72, v16, v68
	v_pk_add_f32 v[74:75], v[74:75], v[72:73]
	s_mov_b32 s2, 0x7f800000
	v_pk_fma_f32 v[66:67], v[68:69], v[66:67], v[74:75] neg_lo:[1,0,0] neg_hi:[1,0,0]
	v_sub_f32_e32 v63, v73, v75
	v_sub_f32_e32 v16, v72, v66
	v_mul_f32_e32 v66, v74, v75
	v_add_f32_e32 v63, v77, v63
	v_fma_f32 v72, v74, v75, -v66
	v_fmac_f32_e32 v72, v74, v63
	v_cvt_f64_f32_e64 v[66:67], |v13|
	v_fmac_f32_e32 v72, v16, v75
	v_frexp_exp_i32_f64_e32 v16, v[66:67]
	v_subbrev_co_u32_e32 v16, vcc, 0, v16, vcc
	v_cvt_f32_i32_e32 v66, v16
	v_fma_f32 v69, v74, v75, v72
	v_fma_f32 v16, -v74, v75, v69
	v_mov_b32_e32 v67, v68
	v_sub_f32_e32 v16, v72, v16
	v_pk_mul_f32 v[72:73], v[66:67], s[0:1]
	v_fmac_f32_e32 v16, 2.0, v14
	v_fma_f32 v68, v66, s0, -v72
	v_fmac_f32_e32 v68, 0xb102e308, v66
	v_pk_fma_f32 v[74:75], v[66:67], s[0:1], v[68:69]
	s_nop 0
	v_pk_fma_f32 v[66:67], v[66:67], s[0:1], v[74:75] neg_lo:[1,0,0] neg_hi:[1,0,0]
	s_nop 0
	v_sub_f32_e32 v14, v69, v67
	v_add_f32_e32 v73, v16, v14
	v_pk_add_f32 v[76:77], v[74:75], v[72:73]
	v_mov_b32_e32 v69, v74
	v_mov_b32_e32 v67, v77
	v_pk_add_f32 v[78:79], v[68:69], v[66:67] neg_lo:[0,1] neg_hi:[0,1]
	v_pk_add_f32 v[66:67], v[68:69], v[66:67]
	v_mov_b32_e32 v72, v73
	v_pk_add_f32 v[68:69], v[66:67], v[74:75] op_sel:[1,0] op_sel_hi:[0,1] neg_lo:[0,1] neg_hi:[0,1]
	v_pk_add_f32 v[80:81], v[76:77], v[68:69] op_sel_hi:[1,0] neg_lo:[0,1] neg_hi:[0,1]
	v_mov_b32_e32 v66, v77
	v_pk_mov_b32 v[68:69], v[74:75], v[68:69] op_sel:[1,0]
	v_mov_b32_e32 v73, v74
	v_pk_add_f32 v[68:69], v[66:67], v[68:69] neg_lo:[0,1] neg_hi:[0,1]
	v_mov_b32_e32 v80, v78
	v_pk_add_f32 v[68:69], v[72:73], v[68:69] neg_lo:[0,1] neg_hi:[0,1]
	v_mov_b32_e32 v75, v64
	v_pk_add_f32 v[72:73], v[80:81], v[68:69]
	v_mov_b32_e32 v77, v65
	v_mov_b32_e32 v74, v72
	;; [unrolled: 1-line block ×3, first 2 shown]
	v_pk_add_f32 v[76:77], v[74:75], v[76:77]
	v_mov_b32_e32 v14, v67
	v_pk_add_f32 v[14:15], v[14:15], v[76:77]
	v_mov_b32_e32 v79, v67
	v_mov_b32_e32 v65, v15
	;; [unrolled: 1-line block ×3, first 2 shown]
	v_pk_add_f32 v[64:65], v[64:65], v[70:71] neg_lo:[0,1] neg_hi:[0,1]
	v_pk_add_f32 v[66:67], v[72:73], v[78:79] neg_lo:[0,1] neg_hi:[0,1]
	v_mov_b32_e32 v63, v77
	v_mov_b32_e32 v72, v66
	;; [unrolled: 1-line block ×4, first 2 shown]
	v_pk_add_f32 v[62:63], v[62:63], v[64:65] neg_lo:[0,1] neg_hi:[0,1]
	v_pk_add_f32 v[64:65], v[74:75], v[72:73] neg_lo:[0,1] neg_hi:[0,1]
	v_mov_b32_e32 v79, v70
	v_pk_add_f32 v[66:67], v[68:69], v[66:67] neg_lo:[0,1] neg_hi:[0,1]
	v_pk_add_f32 v[64:65], v[78:79], v[64:65] neg_lo:[0,1] neg_hi:[0,1]
	v_mov_b32_e32 v68, v66
	v_mov_b32_e32 v69, v62
	v_pk_add_f32 v[64:65], v[68:69], v[64:65]
	v_mov_b32_e32 v62, v67
	v_pk_add_f32 v[62:63], v[64:65], v[62:63]
	;; [unrolled: 2-line block ×3, first 2 shown]
	s_nop 0
	v_pk_add_f32 v[14:15], v[64:65], v[14:15] neg_lo:[0,1] neg_hi:[0,1]
	v_mul_f32_e32 v67, 0, v65
	v_pk_add_f32 v[14:15], v[62:63], v[14:15] neg_lo:[0,1] neg_hi:[0,1]
	v_pk_add_f32 v[62:63], v[64:65], v[64:65]
	v_mov_b32_e32 v68, v65
	v_pk_add_f32 v[70:71], v[62:63], 0 neg_lo:[1,1] neg_hi:[1,1]
	v_mov_b32_e32 v69, v15
	v_mov_b32_e32 v66, v71
	v_pk_fma_f32 v[66:67], v[68:69], 2.0, v[66:67] op_sel_hi:[1,0,1]
	v_mul_f32_e32 v71, 0, v64
	v_mov_b32_e32 v68, v64
	v_mov_b32_e32 v69, v14
	v_pk_fma_f32 v[14:15], v[68:69], 2.0, v[70:71] op_sel_hi:[1,0,1]
	v_mov_b32_e32 v69, v66
	v_mov_b32_e32 v68, v14
	;; [unrolled: 1-line block ×3, first 2 shown]
	v_pk_add_f32 v[14:15], v[68:69], v[66:67]
	v_cmp_class_f32_e32 vcc, v63, v16
	v_pk_fma_f32 v[66:67], v[64:65], 2.0, v[14:15] op_sel_hi:[1,0,1]
	s_nop 0
	v_cndmask_b32_e32 v63, v67, v63, vcc
	v_cmp_class_f32_e32 vcc, v62, v16
	v_pk_fma_f32 v[64:65], v[64:65], 2.0, v[66:67] op_sel_hi:[1,0,1] neg_lo:[1,0,0] neg_hi:[1,0,0]
	s_nop 0
	v_cndmask_b32_e32 v16, v66, v62, vcc
	v_mov_b32_e32 v62, 0x37000000
	v_cmp_eq_f32_e32 vcc, s6, v63
	v_pk_add_f32 v[14:15], v[14:15], v[64:65] neg_lo:[0,1] neg_hi:[0,1]
	s_nop 0
	v_cndmask_b32_e32 v62, 0, v62, vcc
	v_sub_f32_e32 v64, v63, v62
	v_mul_f32_e32 v65, 0x3fb8aa3b, v64
	v_fma_f32 v66, v64, s7, -v65
	v_rndne_f32_e32 v65, v65
	v_fmac_f32_e32 v66, 0x32a5705f, v64
	v_fma_f32 v67, v64, s7, -v65
	v_add_f32_e32 v66, v67, v66
	v_exp_f32_e32 v66, v66
	v_cvt_i32_f32_e32 v65, v65
	v_cmp_neq_f32_e64 vcc, |v63|, s2
	v_cmp_ngt_f32_e64 s[0:1], s8, v64
	s_nop 0
	v_cndmask_b32_e32 v15, 0, v15, vcc
	v_add_f32_e32 v62, v62, v15
	v_ldexp_f32 v15, v66, v65
	v_cndmask_b32_e64 v63, 0, v15, s[0:1]
	v_mov_b32_e32 v15, 0x7f800000
	v_cmp_nlt_f32_e64 s[0:1], s6, v64
	v_cmp_eq_f32_e32 vcc, s6, v16
	s_nop 0
	v_cndmask_b32_e64 v63, v15, v63, s[0:1]
	s_movk_i32 s0, 0x204
	v_fma_f32 v62, v63, v62, v63
	v_cmp_class_f32_e64 s[0:1], v63, s0
	s_nop 1
	v_cndmask_b32_e64 v62, v62, v63, s[0:1]
	s_mov_b32 s0, 0x3d372713
	.loc	1 46 61                         ; geglu_aot.py:46:61
	v_fma_f32 v62, |v62|, s0, 1.0
	.loc	1 46 81                         ; geglu_aot.py:46:81
	v_cmp_neq_f32_e64 s[0:1], |v12|, s2
                                        ; implicit-def: $vgpr63
	s_nop 1
	v_cndmask_b32_e64 v62, v15, v62, s[0:1]
	v_cmp_neq_f16_e64 s[0:1], 0, v18
	s_nop 1
	v_cndmask_b32_e64 v18, 1.0, v62, s[0:1]
	.loc	1 46 57                         ; geglu_aot.py:46:57
	v_mul_f32_e32 v62, v82, v18
	s_mov_b32 s0, 0x3f200000
	.loc	1 46 37                         ; geglu_aot.py:46:37
	v_cmp_nlt_f32_e64 s[0:1], |v62|, s0
	s_and_saveexec_b64 s[2:3], s[0:1]
	s_xor_b64 s[2:3], exec, s[2:3]
	s_cbranch_execz .LBB0_114
; %bb.113:
	v_add_f32_e64 v18, |v62|, |v62|
	v_mul_f32_e32 v63, 0x3fb8aa3b, v18
	v_fma_f32 v64, v18, s7, -v63
	v_rndne_f32_e32 v63, v63
	v_fmac_f32_e32 v64, 0x32a5705f, v18
	v_fma_f32 v65, v18, s7, -v63
	v_add_f32_e32 v64, v65, v64
	v_cvt_i32_f32_e32 v63, v63
	v_exp_f32_e32 v64, v64
	v_cmp_ngt_f32_e64 s[0:1], s8, v18
	v_ldexp_f32 v63, v64, v63
	s_nop 0
	v_cndmask_b32_e64 v63, 0, v63, s[0:1]
	v_cmp_nlt_f32_e64 s[0:1], s6, v18
	s_nop 1
	v_cndmask_b32_e64 v15, v15, v63, s[0:1]
	v_add_f32_e32 v15, 1.0, v15
	v_rcp_f32_e32 v15, v15
	s_nop 0
	v_fma_f32 v63, v15, -2.0, 1.0
.LBB0_114:                              ; %Flow3
	.loc	1 0 37                          ; geglu_aot.py:0:37
	s_or_saveexec_b64 s[0:1], s[2:3]
	.loc	1 46 0                          ; geglu_aot.py:46
	v_and_b32_e32 v15, 0x7fffffff, v13
	s_xor_b64 exec, exec, s[0:1]
; %bb.115:
	.loc	1 46 37                         ; geglu_aot.py:46:37
	v_mul_f32_e32 v18, v62, v62
	v_mov_b32_e32 v63, 0x3ca908c9
	v_fmac_f32_e32 v63, 0xbbbac73d, v18
	v_fmaak_f32 v63, v18, v63, 0xbd5c1c4e
	v_fmaak_f32 v63, v18, v63, 0x3e088382
	;; [unrolled: 1-line block ×3, first 2 shown]
	v_mul_f32_e64 v63, |v62|, v63
	v_fma_f32 v63, v18, v63, |v62|
; %bb.116:                              ; %__ocml_tanh_f32.exit12
	.loc	1 0 37                          ; geglu_aot.py:0:37
	s_or_b64 exec, exec, s[0:1]
	.loc	1 46 81                         ; geglu_aot.py:46:81
	v_mov_b32_e32 v64, 0x37000000
	v_cndmask_b32_e32 v64, 0, v64, vcc
	v_sub_f32_e32 v65, v16, v64
	s_mov_b32 s2, 0x3fb8aa3b
	v_mul_f32_e32 v66, 0x3fb8aa3b, v65
	v_fma_f32 v67, v65, s2, -v66
	v_rndne_f32_e32 v66, v66
	v_fmac_f32_e32 v67, 0x32a5705f, v65
	v_fma_f32 v68, v65, s2, -v66
	v_add_f32_e32 v67, v68, v67
	v_exp_f32_e32 v67, v67
	v_cvt_i32_f32_e32 v66, v66
	s_mov_b32 s0, 0x7f800000
	v_cmp_neq_f32_e64 vcc, |v16|, s0
	s_mov_b32 s3, 0xc2ce8ed0
	s_movk_i32 s1, 0x204
	v_cndmask_b32_e32 v14, 0, v14, vcc
	v_add_f32_e32 v16, v64, v14
	v_ldexp_f32 v14, v67, v66
	v_cmp_ngt_f32_e32 vcc, s3, v65
	.loc	1 46 50                         ; geglu_aot.py:46:50
	v_mul_f32_e32 v18, 0x3f4c422a, v13
	.loc	1 46 81                         ; geglu_aot.py:46:81
	s_nop 0
	v_cndmask_b32_e32 v64, 0, v14, vcc
	v_mov_b32_e32 v14, 0x7f800000
	v_cmp_nlt_f32_e32 vcc, s6, v65
                                        ; implicit-def: $vgpr65
	s_nop 1
	v_cndmask_b32_e32 v64, v14, v64, vcc
	v_fma_f32 v16, v64, v16, v64
	v_cmp_class_f32_e64 vcc, v64, s1
	s_mov_b32 s1, 0x3d372713
	s_nop 0
	v_cndmask_b32_e32 v16, v16, v64, vcc
	.loc	1 46 61                         ; geglu_aot.py:46:61
	v_fma_f32 v16, |v16|, s1, 1.0
	.loc	1 46 81                         ; geglu_aot.py:46:81
	v_cmp_neq_f32_e32 vcc, s0, v15
	s_mov_b32 s0, 0x3f200000
	s_nop 0
	v_cndmask_b32_e32 v15, v14, v16, vcc
	v_cmp_neq_f16_e32 vcc, 0, v17
	s_nop 1
	v_cndmask_b32_e32 v15, 1.0, v15, vcc
	.loc	1 46 57                         ; geglu_aot.py:46:57
	v_mul_f32_e32 v64, v18, v15
	.loc	1 46 37                         ; geglu_aot.py:46:37
	v_cmp_nlt_f32_e64 s[0:1], |v64|, s0
	s_and_saveexec_b64 s[8:9], s[0:1]
	s_xor_b64 s[0:1], exec, s[8:9]
	s_cbranch_execz .LBB0_118
; %bb.117:
	v_add_f32_e64 v15, |v64|, |v64|
	v_mul_f32_e32 v16, 0x3fb8aa3b, v15
	v_fma_f32 v17, v15, s2, -v16
	v_rndne_f32_e32 v16, v16
	v_fmac_f32_e32 v17, 0x32a5705f, v15
	v_fma_f32 v18, v15, s2, -v16
	v_add_f32_e32 v17, v18, v17
	v_cvt_i32_f32_e32 v16, v16
	v_exp_f32_e32 v17, v17
	v_cmp_ngt_f32_e32 vcc, s3, v15
	v_ldexp_f32 v16, v17, v16
	s_nop 0
	v_cndmask_b32_e32 v16, 0, v16, vcc
	v_cmp_nlt_f32_e32 vcc, s6, v15
	s_nop 1
	v_cndmask_b32_e32 v14, v14, v16, vcc
	v_add_f32_e32 v14, 1.0, v14
	v_rcp_f32_e32 v14, v14
	s_nop 0
	v_fma_f32 v65, v14, -2.0, 1.0
.LBB0_118:                              ; %Flow2
	.loc	1 0 37                          ; geglu_aot.py:0:37
	s_andn2_saveexec_b64 s[0:1], s[0:1]
; %bb.119:
	.loc	1 46 37 is_stmt 1               ; geglu_aot.py:46:37
	v_mul_f32_e32 v14, v64, v64
	v_mov_b32_e32 v15, 0x3ca908c9
	v_fmac_f32_e32 v15, 0xbbbac73d, v14
	v_fmaak_f32 v15, v14, v15, 0xbd5c1c4e
	v_fmaak_f32 v15, v14, v15, 0x3e088382
	;; [unrolled: 1-line block ×3, first 2 shown]
	v_mul_f32_e64 v15, |v64|, v15
	v_fma_f32 v65, v14, v15, |v64|
; %bb.120:                              ; %__ocml_tanh_f32.exit13
	.loc	1 0 37 is_stmt 0                ; geglu_aot.py:0:37
	s_or_b64 exec, exec, s[0:1]
	.loc	1 43 56 is_stmt 1               ; geglu_aot.py:43:56
	v_cvt_f32_f16_e32 v14, v37
	s_mov_b32 s2, 0x3f2aaaab
	v_mov_b32_e32 v82, 0x3e91f4c4
	s_mov_b32 s0, 0x3f317218
	.loc	1 46 81                         ; geglu_aot.py:46:81
	v_frexp_mant_f32_e64 v16, |v14|
	v_cmp_gt_f32_e32 vcc, s2, v16
	s_mov_b32 s1, 2.0
	.loc	1 43 56                         ; geglu_aot.py:43:56
	v_cvt_f32_f16_e32 v15, v36
	.loc	1 46 81                         ; geglu_aot.py:46:81
	v_cndmask_b32_e64 v17, 1.0, 2.0, vcc
	v_fma_f32 v18, v16, v17, 1.0
	v_rcp_f32_e32 v67, v18
	v_add_f32_e32 v66, -1.0, v18
	v_fma_f32 v69, v16, v17, -v66
	v_fma_f32 v17, v16, v17, -1.0
	v_mul_f32_e32 v66, v17, v67
	v_mul_f32_e32 v68, v18, v66
	v_fma_f32 v70, v66, v18, -v68
	v_fmac_f32_e32 v70, v66, v69
	v_fma_f32 v16, v18, v66, v70
	v_sub_f32_e32 v69, v17, v16
	v_pk_add_f32 v[72:73], v[16:17], v[68:69] neg_lo:[0,1] neg_hi:[0,1]
	v_mov_b32_e32 v71, v16
	v_pk_add_f32 v[70:71], v[72:73], v[70:71] neg_lo:[0,1] neg_hi:[0,1]
	v_mov_b32_e32 v83, 0x3ecccdef
	v_add_f32_e32 v16, v70, v71
	v_add_f32_e32 v16, v69, v16
	v_fmac_f32_e32 v66, v67, v16
	v_fma_f32 v17, -v17, v67, v66
	v_fma_f32 v18, v67, v16, -v17
	v_mul_f32_e32 v17, v66, v66
	v_add_f32_e32 v16, v18, v18
	v_fma_f32 v17, v66, v66, -v17
	v_fmac_f32_e32 v17, v66, v16
	v_fma_f32 v16, v66, v66, v17
	v_fma_f32 v67, -v66, v66, v16
	v_sub_f32_e32 v74, v17, v67
	v_fmamk_f32 v17, v16, 0x3e76c4e1, v82
	v_fmaak_f32 v17, v16, v17, 0x3ecccdef
	v_mul_f32_e32 v67, v16, v17
	v_fma_f32 v67, v16, v17, -v67
	v_fmac_f32_e32 v67, v74, v17
	v_fma_f32 v68, v16, v17, v67
	v_fma_f32 v17, -v16, v17, v68
	v_add_f32_e32 v69, 0x3f2aaaaa, v68
	v_sub_f32_e32 v17, v67, v17
	v_add_f32_e32 v67, 0x31739010, v17
	v_add_f32_e32 v17, 0xbf2aaaaa, v69
	v_sub_f32_e32 v17, v68, v17
	v_pk_mul_f32 v[70:71], v[66:67], v[16:17]
	v_pk_add_f32 v[72:73], v[66:67], v[16:17]
	v_fma_f32 v68, v16, v66, -v70
	v_fmac_f32_e32 v68, v16, v18
	v_mov_b32_e32 v71, v73
	v_fmac_f32_e32 v68, v74, v66
	v_pk_add_f32 v[70:71], v[70:71], v[68:69]
	s_mov_b32 s8, 0xc2ce8ed0
	v_pk_fma_f32 v[16:17], v[66:67], v[16:17], v[70:71] neg_lo:[1,0,0] neg_hi:[1,0,0]
	v_mul_f32_e32 v67, v70, v71
	v_sub_f32_e32 v17, v69, v71
	v_sub_f32_e32 v16, v68, v16
	v_add_f32_e32 v17, v73, v17
	v_fma_f32 v68, v70, v71, -v67
	v_fmac_f32_e32 v68, v70, v17
	v_fmac_f32_e32 v68, v16, v71
	v_cvt_f64_f32_e64 v[16:17], |v14|
	v_frexp_exp_i32_f64_e32 v16, v[16:17]
	v_subbrev_co_u32_e32 v16, vcc, 0, v16, vcc
	v_cvt_f32_i32_e32 v16, v16
	v_fma_f32 v67, v70, v71, v68
	v_fma_f32 v17, -v70, v71, v67
	v_sub_f32_e32 v72, v68, v17
	v_mov_b32_e32 v17, v66
	v_pk_mul_f32 v[68:69], v[16:17], s[0:1]
	v_fmac_f32_e32 v72, 2.0, v18
	v_fma_f32 v66, v16, s0, -v68
	v_fmac_f32_e32 v66, 0xb102e308, v16
	v_pk_fma_f32 v[70:71], v[16:17], s[0:1], v[66:67]
	.loc	1 46 50 is_stmt 0               ; geglu_aot.py:46:50
	v_mul_f32_e32 v86, 0x3f4c422a, v14
	.loc	1 46 81                         ; geglu_aot.py:46:81
	v_pk_fma_f32 v[16:17], v[16:17], s[0:1], v[70:71] neg_lo:[1,0,0] neg_hi:[1,0,0]
	s_nop 0
	v_sub_f32_e32 v17, v67, v17
	v_add_f32_e32 v69, v72, v17
	v_pk_add_f32 v[72:73], v[70:71], v[68:69]
	v_mov_b32_e32 v67, v70
	v_mov_b32_e32 v17, v73
	v_pk_add_f32 v[74:75], v[66:67], v[16:17] neg_lo:[0,1] neg_hi:[0,1]
	v_pk_add_f32 v[16:17], v[66:67], v[16:17]
	v_mov_b32_e32 v68, v69
	v_pk_add_f32 v[66:67], v[16:17], v[70:71] op_sel:[1,0] op_sel_hi:[0,1] neg_lo:[0,1] neg_hi:[0,1]
	v_pk_add_f32 v[76:77], v[72:73], v[66:67] op_sel_hi:[1,0] neg_lo:[0,1] neg_hi:[0,1]
	v_mov_b32_e32 v16, v73
	v_pk_mov_b32 v[66:67], v[70:71], v[66:67] op_sel:[1,0]
	v_mov_b32_e32 v69, v70
	v_pk_add_f32 v[66:67], v[16:17], v[66:67] neg_lo:[0,1] neg_hi:[0,1]
	v_frexp_mant_f32_e64 v16, |v15|
	v_cmp_gt_f32_e32 vcc, s2, v16
	v_pk_add_f32 v[66:67], v[68:69], v[66:67] neg_lo:[0,1] neg_hi:[0,1]
	v_mov_b32_e32 v76, v74
	v_cndmask_b32_e64 v18, 1.0, 2.0, vcc
	v_pk_add_f32 v[68:69], v[76:77], v[66:67]
	v_fma_f32 v67, v16, v18, 1.0
	v_rcp_f32_e32 v73, v67
	v_fma_f32 v71, v16, v18, -1.0
	v_add_f32_e32 v70, -1.0, v67
	v_fma_f32 v70, v16, v18, -v70
	v_mul_f32_e32 v72, v71, v73
	v_mul_f32_e32 v76, v67, v72
	v_fma_f32 v78, v72, v67, -v76
	v_fmac_f32_e32 v78, v72, v70
	v_fma_f32 v70, v67, v72, v78
	v_sub_f32_e32 v77, v71, v70
	v_pk_add_f32 v[80:81], v[70:71], v[76:77] neg_lo:[0,1] neg_hi:[0,1]
	v_mov_b32_e32 v79, v70
	v_pk_add_f32 v[78:79], v[80:81], v[78:79] neg_lo:[0,1] neg_hi:[0,1]
	v_mov_b32_e32 v75, v17
	v_add_f32_e32 v16, v78, v79
	v_add_f32_e32 v16, v77, v16
	v_fmac_f32_e32 v72, v73, v16
	v_fma_f32 v18, -v71, v73, v72
	v_fma_f32 v16, v73, v16, -v18
	v_mul_f32_e32 v67, v72, v72
	v_add_f32_e32 v18, v16, v16
	v_fma_f32 v67, v72, v72, -v67
	v_fmac_f32_e32 v67, v72, v18
	v_fma_f32 v70, v72, v72, v67
	v_fmac_f32_e32 v82, 0x3e76c4e1, v70
	v_fma_f32 v18, -v72, v72, v70
	v_fmac_f32_e32 v83, v70, v82
	v_sub_f32_e32 v18, v67, v18
	v_mul_f32_e32 v67, v70, v83
	v_fma_f32 v67, v70, v83, -v67
	v_fmac_f32_e32 v67, v18, v83
	v_fma_f32 v71, v70, v83, v67
	v_fma_f32 v73, -v70, v83, v71
	v_add_f32_e32 v77, 0x3f2aaaaa, v71
	v_sub_f32_e32 v67, v67, v73
	v_add_f32_e32 v73, 0x31739010, v67
	v_add_f32_e32 v67, 0xbf2aaaaa, v77
	v_sub_f32_e32 v71, v71, v67
	v_pk_mul_f32 v[78:79], v[72:73], v[70:71]
	v_pk_add_f32 v[80:81], v[72:73], v[70:71]
	v_fma_f32 v76, v70, v72, -v78
	v_fmac_f32_e32 v76, v70, v16
	v_mov_b32_e32 v79, v81
	v_fmac_f32_e32 v76, v18, v72
	v_pk_add_f32 v[78:79], v[78:79], v[76:77]
	s_mov_b32 s2, 0x7f800000
	v_pk_fma_f32 v[70:71], v[72:73], v[70:71], v[78:79] neg_lo:[1,0,0] neg_hi:[1,0,0]
	v_sub_f32_e32 v67, v77, v79
	v_sub_f32_e32 v18, v76, v70
	v_mul_f32_e32 v70, v78, v79
	v_add_f32_e32 v67, v81, v67
	v_fma_f32 v76, v78, v79, -v70
	v_fmac_f32_e32 v76, v78, v67
	v_cvt_f64_f32_e64 v[70:71], |v15|
	v_fmac_f32_e32 v76, v18, v79
	v_frexp_exp_i32_f64_e32 v18, v[70:71]
	v_subbrev_co_u32_e32 v18, vcc, 0, v18, vcc
	v_cvt_f32_i32_e32 v70, v18
	v_fma_f32 v73, v78, v79, v76
	v_fma_f32 v18, -v78, v79, v73
	v_mov_b32_e32 v71, v72
	v_sub_f32_e32 v18, v76, v18
	v_pk_mul_f32 v[76:77], v[70:71], s[0:1]
	v_fmac_f32_e32 v18, 2.0, v16
	v_fma_f32 v72, v70, s0, -v76
	v_fmac_f32_e32 v72, 0xb102e308, v70
	v_pk_fma_f32 v[78:79], v[70:71], s[0:1], v[72:73]
	s_nop 0
	v_pk_fma_f32 v[70:71], v[70:71], s[0:1], v[78:79] neg_lo:[1,0,0] neg_hi:[1,0,0]
	s_nop 0
	v_sub_f32_e32 v16, v73, v71
	v_add_f32_e32 v77, v18, v16
	v_pk_add_f32 v[80:81], v[78:79], v[76:77]
	v_mov_b32_e32 v73, v78
	v_mov_b32_e32 v71, v81
	v_pk_add_f32 v[82:83], v[72:73], v[70:71] neg_lo:[0,1] neg_hi:[0,1]
	v_pk_add_f32 v[70:71], v[72:73], v[70:71]
	v_mov_b32_e32 v76, v77
	v_pk_add_f32 v[72:73], v[70:71], v[78:79] op_sel:[1,0] op_sel_hi:[0,1] neg_lo:[0,1] neg_hi:[0,1]
	v_pk_add_f32 v[84:85], v[80:81], v[72:73] op_sel_hi:[1,0] neg_lo:[0,1] neg_hi:[0,1]
	v_mov_b32_e32 v70, v81
	v_pk_mov_b32 v[72:73], v[78:79], v[72:73] op_sel:[1,0]
	v_mov_b32_e32 v77, v78
	v_pk_add_f32 v[72:73], v[70:71], v[72:73] neg_lo:[0,1] neg_hi:[0,1]
	v_mov_b32_e32 v84, v82
	v_pk_add_f32 v[72:73], v[76:77], v[72:73] neg_lo:[0,1] neg_hi:[0,1]
	v_mov_b32_e32 v79, v68
	v_pk_add_f32 v[76:77], v[84:85], v[72:73]
	v_mov_b32_e32 v81, v69
	v_mov_b32_e32 v78, v76
	;; [unrolled: 1-line block ×3, first 2 shown]
	v_pk_add_f32 v[80:81], v[78:79], v[80:81]
	v_mov_b32_e32 v16, v71
	v_pk_add_f32 v[16:17], v[16:17], v[80:81]
	v_mov_b32_e32 v83, v71
	v_mov_b32_e32 v69, v17
	v_mov_b32_e32 v77, v16
	v_pk_add_f32 v[68:69], v[68:69], v[74:75] neg_lo:[0,1] neg_hi:[0,1]
	v_pk_add_f32 v[70:71], v[76:77], v[82:83] neg_lo:[0,1] neg_hi:[0,1]
	v_mov_b32_e32 v67, v81
	v_mov_b32_e32 v76, v70
	;; [unrolled: 1-line block ×4, first 2 shown]
	v_pk_add_f32 v[66:67], v[66:67], v[68:69] neg_lo:[0,1] neg_hi:[0,1]
	v_pk_add_f32 v[68:69], v[78:79], v[76:77] neg_lo:[0,1] neg_hi:[0,1]
	v_mov_b32_e32 v83, v74
	v_pk_add_f32 v[70:71], v[72:73], v[70:71] neg_lo:[0,1] neg_hi:[0,1]
	v_pk_add_f32 v[68:69], v[82:83], v[68:69] neg_lo:[0,1] neg_hi:[0,1]
	v_mov_b32_e32 v72, v70
	v_mov_b32_e32 v73, v66
	v_pk_add_f32 v[68:69], v[72:73], v[68:69]
	v_mov_b32_e32 v66, v71
	v_pk_add_f32 v[66:67], v[68:69], v[66:67]
	;; [unrolled: 2-line block ×3, first 2 shown]
	s_nop 0
	v_pk_add_f32 v[16:17], v[68:69], v[16:17] neg_lo:[0,1] neg_hi:[0,1]
	v_mul_f32_e32 v71, 0, v69
	v_pk_add_f32 v[16:17], v[66:67], v[16:17] neg_lo:[0,1] neg_hi:[0,1]
	v_pk_add_f32 v[66:67], v[68:69], v[68:69]
	v_mov_b32_e32 v72, v69
	v_pk_add_f32 v[74:75], v[66:67], 0 neg_lo:[1,1] neg_hi:[1,1]
	v_mov_b32_e32 v73, v17
	v_mov_b32_e32 v70, v75
	v_pk_fma_f32 v[70:71], v[72:73], 2.0, v[70:71] op_sel_hi:[1,0,1]
	v_mul_f32_e32 v75, 0, v68
	v_mov_b32_e32 v72, v68
	v_mov_b32_e32 v73, v16
	v_pk_fma_f32 v[16:17], v[72:73], 2.0, v[74:75] op_sel_hi:[1,0,1]
	v_mov_b32_e32 v73, v70
	v_mov_b32_e32 v72, v16
	;; [unrolled: 1-line block ×3, first 2 shown]
	v_pk_add_f32 v[16:17], v[72:73], v[70:71]
	v_cmp_class_f32_e32 vcc, v67, v18
	v_pk_fma_f32 v[70:71], v[68:69], 2.0, v[16:17] op_sel_hi:[1,0,1]
	s_nop 0
	v_cndmask_b32_e32 v67, v71, v67, vcc
	v_cmp_class_f32_e32 vcc, v66, v18
	v_pk_fma_f32 v[68:69], v[68:69], 2.0, v[70:71] op_sel_hi:[1,0,1] neg_lo:[1,0,0] neg_hi:[1,0,0]
	s_nop 0
	v_cndmask_b32_e32 v18, v70, v66, vcc
	v_mov_b32_e32 v66, 0x37000000
	v_cmp_eq_f32_e32 vcc, s6, v67
	v_pk_add_f32 v[16:17], v[16:17], v[68:69] neg_lo:[0,1] neg_hi:[0,1]
	s_nop 0
	v_cndmask_b32_e32 v66, 0, v66, vcc
	v_sub_f32_e32 v68, v67, v66
	v_mul_f32_e32 v69, 0x3fb8aa3b, v68
	v_fma_f32 v70, v68, s7, -v69
	v_rndne_f32_e32 v69, v69
	v_fmac_f32_e32 v70, 0x32a5705f, v68
	v_fma_f32 v71, v68, s7, -v69
	v_add_f32_e32 v70, v71, v70
	v_exp_f32_e32 v70, v70
	v_cvt_i32_f32_e32 v69, v69
	v_cmp_neq_f32_e64 vcc, |v67|, s2
	v_cmp_ngt_f32_e64 s[0:1], s8, v68
	s_nop 0
	v_cndmask_b32_e32 v17, 0, v17, vcc
	v_add_f32_e32 v66, v66, v17
	v_ldexp_f32 v17, v70, v69
	v_cndmask_b32_e64 v67, 0, v17, s[0:1]
	v_mov_b32_e32 v17, 0x7f800000
	v_cmp_nlt_f32_e64 s[0:1], s6, v68
	v_cmp_eq_f32_e32 vcc, s6, v18
	s_nop 0
	v_cndmask_b32_e64 v67, v17, v67, s[0:1]
	s_movk_i32 s0, 0x204
	v_fma_f32 v66, v67, v66, v67
	v_cmp_class_f32_e64 s[0:1], v67, s0
	s_nop 1
	v_cndmask_b32_e64 v66, v66, v67, s[0:1]
	s_mov_b32 s0, 0x3d372713
	.loc	1 46 61                         ; geglu_aot.py:46:61
	v_fma_f32 v66, |v66|, s0, 1.0
	.loc	1 46 81                         ; geglu_aot.py:46:81
	v_cmp_neq_f32_e64 s[0:1], |v14|, s2
	s_nop 1
	v_cndmask_b32_e64 v66, v17, v66, s[0:1]
	v_cmp_neq_f16_e64 s[0:1], 0, v37
	s_nop 1
	v_cndmask_b32_e64 v37, 1.0, v66, s[0:1]
	.loc	1 46 57                         ; geglu_aot.py:46:57
	v_mul_f32_e32 v37, v86, v37
	s_mov_b32 s0, 0x3f200000
	.loc	1 46 37                         ; geglu_aot.py:46:37
	v_cmp_nlt_f32_e64 s[0:1], |v37|, s0
                                        ; implicit-def: $vgpr66
	s_and_saveexec_b64 s[2:3], s[0:1]
	s_xor_b64 s[2:3], exec, s[2:3]
	s_cbranch_execz .LBB0_122
; %bb.121:
	v_add_f32_e64 v66, |v37|, |v37|
	v_mul_f32_e32 v67, 0x3fb8aa3b, v66
	v_fma_f32 v68, v66, s7, -v67
	v_rndne_f32_e32 v67, v67
	v_fmac_f32_e32 v68, 0x32a5705f, v66
	v_fma_f32 v69, v66, s7, -v67
	v_add_f32_e32 v68, v69, v68
	v_cvt_i32_f32_e32 v67, v67
	v_exp_f32_e32 v68, v68
	v_cmp_ngt_f32_e64 s[0:1], s8, v66
	v_ldexp_f32 v67, v68, v67
	s_nop 0
	v_cndmask_b32_e64 v67, 0, v67, s[0:1]
	v_cmp_nlt_f32_e64 s[0:1], s6, v66
	s_nop 1
	v_cndmask_b32_e64 v17, v17, v67, s[0:1]
	v_add_f32_e32 v17, 1.0, v17
	v_rcp_f32_e32 v17, v17
	s_nop 0
	v_fma_f32 v66, v17, -2.0, 1.0
.LBB0_122:                              ; %Flow1
	.loc	1 0 37                          ; geglu_aot.py:0:37
	s_or_saveexec_b64 s[0:1], s[2:3]
	.loc	1 46 0                          ; geglu_aot.py:46
	v_and_b32_e32 v17, 0x7fffffff, v15
	s_xor_b64 exec, exec, s[0:1]
; %bb.123:
	.loc	1 46 37                         ; geglu_aot.py:46:37
	v_mul_f32_e32 v66, v37, v37
	v_mov_b32_e32 v67, 0x3ca908c9
	v_fmac_f32_e32 v67, 0xbbbac73d, v66
	v_fmaak_f32 v67, v66, v67, 0xbd5c1c4e
	v_fmaak_f32 v67, v66, v67, 0x3e088382
	;; [unrolled: 1-line block ×3, first 2 shown]
	v_mul_f32_e64 v67, |v37|, v67
	v_fma_f32 v66, v66, v67, |v37|
; %bb.124:                              ; %__ocml_tanh_f32.exit14
	.loc	1 0 37                          ; geglu_aot.py:0:37
	s_or_b64 exec, exec, s[0:1]
	.loc	1 46 81                         ; geglu_aot.py:46:81
	v_mov_b32_e32 v68, 0x37000000
	v_cndmask_b32_e32 v68, 0, v68, vcc
	v_sub_f32_e32 v69, v18, v68
	s_mov_b32 s2, 0x3fb8aa3b
	v_mul_f32_e32 v70, 0x3fb8aa3b, v69
	v_fma_f32 v71, v69, s2, -v70
	v_rndne_f32_e32 v70, v70
	v_fmac_f32_e32 v71, 0x32a5705f, v69
	v_fma_f32 v72, v69, s2, -v70
	v_add_f32_e32 v71, v72, v71
	v_exp_f32_e32 v71, v71
	v_cvt_i32_f32_e32 v70, v70
	s_mov_b32 s0, 0x7f800000
	v_cmp_neq_f32_e64 vcc, |v18|, s0
	s_mov_b32 s3, 0xc2ce8ed0
	s_movk_i32 s1, 0x204
	v_cndmask_b32_e32 v16, 0, v16, vcc
	v_add_f32_e32 v18, v68, v16
	v_ldexp_f32 v16, v71, v70
	v_cmp_ngt_f32_e32 vcc, s3, v69
	.loc	1 46 50                         ; geglu_aot.py:46:50
	v_mul_f32_e32 v67, 0x3f4c422a, v15
	.loc	1 46 81                         ; geglu_aot.py:46:81
	s_nop 0
	v_cndmask_b32_e32 v68, 0, v16, vcc
	v_mov_b32_e32 v16, 0x7f800000
	v_cmp_nlt_f32_e32 vcc, s6, v69
	s_nop 1
	v_cndmask_b32_e32 v68, v16, v68, vcc
	v_fma_f32 v18, v68, v18, v68
	v_cmp_class_f32_e64 vcc, v68, s1
	s_mov_b32 s1, 0x3d372713
	s_nop 0
	v_cndmask_b32_e32 v18, v18, v68, vcc
	.loc	1 46 61                         ; geglu_aot.py:46:61
	v_fma_f32 v18, |v18|, s1, 1.0
	.loc	1 46 81                         ; geglu_aot.py:46:81
	v_cmp_neq_f32_e32 vcc, s0, v17
	s_mov_b32 s0, 0x3f200000
	s_nop 0
	v_cndmask_b32_e32 v17, v16, v18, vcc
	v_cmp_neq_f16_e32 vcc, 0, v36
                                        ; implicit-def: $vgpr36
	s_nop 1
	v_cndmask_b32_e32 v17, 1.0, v17, vcc
	.loc	1 46 57                         ; geglu_aot.py:46:57
	v_mul_f32_e32 v18, v67, v17
	.loc	1 46 37                         ; geglu_aot.py:46:37
	v_cmp_nlt_f32_e64 s[0:1], |v18|, s0
	s_and_saveexec_b64 s[8:9], s[0:1]
	s_xor_b64 s[0:1], exec, s[8:9]
	s_cbranch_execz .LBB0_126
; %bb.125:
	v_add_f32_e64 v17, |v18|, |v18|
	v_mul_f32_e32 v36, 0x3fb8aa3b, v17
	v_fma_f32 v67, v17, s2, -v36
	v_rndne_f32_e32 v36, v36
	v_fmac_f32_e32 v67, 0x32a5705f, v17
	v_fma_f32 v68, v17, s2, -v36
	v_add_f32_e32 v67, v68, v67
	v_cvt_i32_f32_e32 v36, v36
	v_exp_f32_e32 v67, v67
	v_cmp_ngt_f32_e32 vcc, s3, v17
	v_ldexp_f32 v36, v67, v36
	s_nop 0
	v_cndmask_b32_e32 v36, 0, v36, vcc
	v_cmp_nlt_f32_e32 vcc, s6, v17
	s_nop 1
	v_cndmask_b32_e32 v16, v16, v36, vcc
	v_add_f32_e32 v16, 1.0, v16
	v_rcp_f32_e32 v16, v16
	s_nop 0
	v_fma_f32 v36, v16, -2.0, 1.0
.LBB0_126:                              ; %Flow
	.loc	1 0 37                          ; geglu_aot.py:0:37
	s_andn2_saveexec_b64 s[0:1], s[0:1]
; %bb.127:
	.loc	1 46 37 is_stmt 1               ; geglu_aot.py:46:37
	v_mul_f32_e32 v16, v18, v18
	v_mov_b32_e32 v17, 0x3ca908c9
	v_fmac_f32_e32 v17, 0xbbbac73d, v16
	v_fmaak_f32 v17, v16, v17, 0xbd5c1c4e
	v_fmaak_f32 v17, v16, v17, 0x3e088382
	;; [unrolled: 1-line block ×3, first 2 shown]
	v_mul_f32_e64 v17, |v18|, v17
	v_fma_f32 v36, v16, v17, |v18|
; %bb.128:                              ; %__ocml_tanh_f32.exit15
	.loc	1 0 37 is_stmt 0                ; geglu_aot.py:0:37
	s_or_b64 exec, exec, s[0:1]
	.loc	1 46 37                         ; geglu_aot.py:46:37
	s_brev_b32 s0, -2
	.loc	1 44 56 is_stmt 1               ; geglu_aot.py:44:56
	v_cvt_f32_f16_e32 v35, v35
	v_cvt_f32_f16_e32 v34, v34
	.loc	1 46 37                         ; geglu_aot.py:46:37
	v_bfi_b32 v17, s0, v41, v40
	v_bfi_b32 v16, s0, v39, v38
	.loc	1 46 21 is_stmt 0               ; geglu_aot.py:46:21
	v_pk_mul_f32 v[38:39], v[0:1], 0.5 op_sel_hi:[1,0]
	.loc	1 46 32                         ; geglu_aot.py:46:32
	v_pk_add_f32 v[16:17], v[16:17], 1.0 op_sel_hi:[1,0]
	.loc	1 40 72 is_stmt 1               ; geglu_aot.py:40:72
	v_mul_lo_u32 v0, v19, s11
	.loc	1 46 28                         ; geglu_aot.py:46:28
	v_pk_mul_f32 v[16:17], v[38:39], v[16:17]
	.loc	1 40 54                         ; geglu_aot.py:40:54
	v_ashrrev_i32_e32 v1, 31, v0
	.loc	1 47 21                         ; geglu_aot.py:47:21
	v_pk_mul_f32 v[16:17], v[16:17], v[34:35]
	.loc	1 49 25                         ; geglu_aot.py:49:25
	s_and_saveexec_b64 s[0:1], s[40:41]
	s_cbranch_execz .LBB0_130
; %bb.129:
	.loc	1 40 39                         ; geglu_aot.py:40:39
	s_mul_i32 s2, s87, s10
	.loc	1 40 21 is_stmt 0               ; geglu_aot.py:40:21
	s_ashr_i32 s3, s2, 31
	s_lshl_b64 s[2:3], s[2:3], 1
	v_cvt_f16_f32_e32 v16, v16
	s_add_u32 s2, s4, s2
	s_addc_u32 s3, s5, s3
	.loc	1 40 54                         ; geglu_aot.py:40:54
	v_lshl_add_u64 v[34:35], v[0:1], 1, s[2:3]
	.loc	1 49 25 is_stmt 1               ; geglu_aot.py:49:25
	global_store_short v[34:35], v16, off
.LBB0_130:
	.loc	1 0 25 is_stmt 0                ; geglu_aot.py:0:25
	s_or_b64 exec, exec, s[0:1]
	.loc	1 49 25                         ; geglu_aot.py:49:25
	s_and_saveexec_b64 s[0:1], s[44:45]
	s_cbranch_execz .LBB0_132
; %bb.131:
	.loc	1 40 39 is_stmt 1               ; geglu_aot.py:40:39
	s_mul_i32 s2, s90, s10
	.loc	1 40 21 is_stmt 0               ; geglu_aot.py:40:21
	s_ashr_i32 s3, s2, 31
	s_lshl_b64 s[2:3], s[2:3], 1
	v_cvt_f16_f32_e32 v19, v17
	s_add_u32 s2, s4, s2
	s_addc_u32 s3, s5, s3
	.loc	1 40 54                         ; geglu_aot.py:40:54
	v_lshl_add_u64 v[16:17], v[0:1], 1, s[2:3]
	.loc	1 49 25 is_stmt 1               ; geglu_aot.py:49:25
	global_store_short v[16:17], v19, off
.LBB0_132:
	.loc	1 0 25 is_stmt 0                ; geglu_aot.py:0:25
	s_or_b64 exec, exec, s[0:1]
	.loc	1 46 37 is_stmt 1               ; geglu_aot.py:46:37
	s_brev_b32 s0, -2
	.loc	1 44 56                         ; geglu_aot.py:44:56
	v_cvt_f32_f16_e32 v33, v33
	v_cvt_f32_f16_e32 v32, v32
	.loc	1 46 37                         ; geglu_aot.py:46:37
	v_bfi_b32 v17, s0, v45, v44
	v_bfi_b32 v16, s0, v43, v42
	.loc	1 46 21 is_stmt 0               ; geglu_aot.py:46:21
	v_pk_mul_f32 v[2:3], v[2:3], 0.5 op_sel_hi:[1,0]
	.loc	1 46 32                         ; geglu_aot.py:46:32
	v_pk_add_f32 v[16:17], v[16:17], 1.0 op_sel_hi:[1,0]
	.loc	1 46 28                         ; geglu_aot.py:46:28
	s_nop 0
	v_pk_mul_f32 v[2:3], v[2:3], v[16:17]
	.loc	1 47 21 is_stmt 1               ; geglu_aot.py:47:21
	s_nop 0
	v_pk_mul_f32 v[2:3], v[2:3], v[32:33]
	.loc	1 49 25                         ; geglu_aot.py:49:25
	s_and_saveexec_b64 s[0:1], s[38:39]
	s_cbranch_execz .LBB0_134
; %bb.133:
	.loc	1 40 39                         ; geglu_aot.py:40:39
	s_mul_i32 s2, s88, s10
	.loc	1 40 21 is_stmt 0               ; geglu_aot.py:40:21
	s_ashr_i32 s3, s2, 31
	s_lshl_b64 s[2:3], s[2:3], 1
	v_cvt_f16_f32_e32 v2, v2
	s_add_u32 s2, s4, s2
	s_addc_u32 s3, s5, s3
	.loc	1 40 54                         ; geglu_aot.py:40:54
	v_lshl_add_u64 v[16:17], v[0:1], 1, s[2:3]
	.loc	1 49 25 is_stmt 1               ; geglu_aot.py:49:25
	global_store_short v[16:17], v2, off
.LBB0_134:
	.loc	1 0 25 is_stmt 0                ; geglu_aot.py:0:25
	s_or_b64 exec, exec, s[0:1]
	.loc	1 49 25                         ; geglu_aot.py:49:25
	s_and_saveexec_b64 s[0:1], s[42:43]
	s_cbranch_execz .LBB0_136
; %bb.135:
	.loc	1 40 39 is_stmt 1               ; geglu_aot.py:40:39
	s_mul_i32 s2, s89, s10
	.loc	1 40 21 is_stmt 0               ; geglu_aot.py:40:21
	s_ashr_i32 s3, s2, 31
	s_lshl_b64 s[2:3], s[2:3], 1
	v_cvt_f16_f32_e32 v16, v3
	s_add_u32 s2, s4, s2
	s_addc_u32 s3, s5, s3
	.loc	1 40 54                         ; geglu_aot.py:40:54
	v_lshl_add_u64 v[2:3], v[0:1], 1, s[2:3]
	.loc	1 49 25 is_stmt 1               ; geglu_aot.py:49:25
	global_store_short v[2:3], v16, off
.LBB0_136:
	.loc	1 0 25 is_stmt 0                ; geglu_aot.py:0:25
	s_or_b64 exec, exec, s[0:1]
	.loc	1 46 37 is_stmt 1               ; geglu_aot.py:46:37
	s_brev_b32 s0, -2
	.loc	1 44 56                         ; geglu_aot.py:44:56
	v_cvt_f32_f16_e32 v17, v31
	v_cvt_f32_f16_e32 v16, v30
	.loc	1 46 37                         ; geglu_aot.py:46:37
	v_bfi_b32 v3, s0, v49, v48
	v_bfi_b32 v2, s0, v47, v46
	.loc	1 46 21 is_stmt 0               ; geglu_aot.py:46:21
	v_pk_mul_f32 v[4:5], v[4:5], 0.5 op_sel_hi:[1,0]
	.loc	1 46 32                         ; geglu_aot.py:46:32
	v_pk_add_f32 v[2:3], v[2:3], 1.0 op_sel_hi:[1,0]
	.loc	1 46 28                         ; geglu_aot.py:46:28
	s_nop 0
	v_pk_mul_f32 v[2:3], v[4:5], v[2:3]
	.loc	1 47 21 is_stmt 1               ; geglu_aot.py:47:21
	s_nop 0
	;; [unrolled: 56-line block ×7, first 2 shown]
	v_pk_mul_f32 v[2:3], v[2:3], v[4:5]
	.loc	1 49 25                         ; geglu_aot.py:49:25
	s_and_saveexec_b64 s[0:1], s[12:13]
	s_cbranch_execnz .LBB0_159
; %bb.157:
	.loc	1 0 25 is_stmt 0                ; geglu_aot.py:0:25
	s_or_b64 exec, exec, s[0:1]
	.loc	1 49 25                         ; geglu_aot.py:49:25
	s_and_saveexec_b64 s[0:1], s[14:15]
	s_cbranch_execnz .LBB0_160
.LBB0_158:
	.loc	1 49 4                          ; geglu_aot.py:49:4
	s_endpgm
.LBB0_159:
	.loc	1 40 39 is_stmt 1               ; geglu_aot.py:40:39
	s_mul_i32 s2, s33, s10
	.loc	1 40 21 is_stmt 0               ; geglu_aot.py:40:21
	s_ashr_i32 s3, s2, 31
	s_lshl_b64 s[2:3], s[2:3], 1
	v_cvt_f16_f32_e32 v2, v2
	s_add_u32 s2, s4, s2
	s_addc_u32 s3, s5, s3
	.loc	1 40 54                         ; geglu_aot.py:40:54
	v_lshl_add_u64 v[4:5], v[0:1], 1, s[2:3]
	.loc	1 49 25 is_stmt 1               ; geglu_aot.py:49:25
	global_store_short v[4:5], v2, off
	s_or_b64 exec, exec, s[0:1]
	s_and_saveexec_b64 s[0:1], s[14:15]
	s_cbranch_execz .LBB0_158
.LBB0_160:
	.loc	1 40 39                         ; geglu_aot.py:40:39
	s_mul_i32 s0, s76, s10
	.loc	1 40 21 is_stmt 0               ; geglu_aot.py:40:21
	s_ashr_i32 s1, s0, 31
	s_lshl_b64 s[0:1], s[0:1], 1
	v_cvt_f16_f32_e32 v2, v3
	s_add_u32 s0, s4, s0
	s_addc_u32 s1, s5, s1
	.loc	1 40 54                         ; geglu_aot.py:40:54
	v_lshl_add_u64 v[0:1], v[0:1], 1, s[0:1]
	.loc	1 49 25 is_stmt 1               ; geglu_aot.py:49:25
	global_store_short v[0:1], v2, off
	.loc	1 49 4 is_stmt 0                ; geglu_aot.py:49:4
	s_endpgm
.Ltmp2:
	.section	.rodata,"a",@progbits
	.p2align	6, 0x0
	.amdhsa_kernel geglu_kernel
		.amdhsa_group_segment_fixed_size 0
		.amdhsa_private_segment_fixed_size 0
		.amdhsa_kernarg_size 56
		.amdhsa_user_sgpr_count 16
		.amdhsa_user_sgpr_dispatch_ptr 0
		.amdhsa_user_sgpr_queue_ptr 0
		.amdhsa_user_sgpr_kernarg_segment_ptr 1
		.amdhsa_user_sgpr_dispatch_id 0
		.amdhsa_user_sgpr_kernarg_preload_length 14
		.amdhsa_user_sgpr_kernarg_preload_offset 0
		.amdhsa_user_sgpr_private_segment_size 0
		.amdhsa_uses_dynamic_stack 0
		.amdhsa_enable_private_segment 0
		.amdhsa_system_sgpr_workgroup_id_x 1
		.amdhsa_system_sgpr_workgroup_id_y 1
		.amdhsa_system_sgpr_workgroup_id_z 0
		.amdhsa_system_sgpr_workgroup_info 0
		.amdhsa_system_vgpr_workitem_id 0
		.amdhsa_next_free_vgpr 87
		.amdhsa_next_free_sgpr 91
		.amdhsa_accum_offset 88
		.amdhsa_reserve_vcc 1
		.amdhsa_reserve_xnack_mask 1
		.amdhsa_float_round_mode_32 0
		.amdhsa_float_round_mode_16_64 0
		.amdhsa_float_denorm_mode_32 3
		.amdhsa_float_denorm_mode_16_64 3
		.amdhsa_dx10_clamp 1
		.amdhsa_ieee_mode 1
		.amdhsa_fp16_overflow 0
		.amdhsa_tg_split 0
		.amdhsa_exception_fp_ieee_invalid_op 0
		.amdhsa_exception_fp_denorm_src 0
		.amdhsa_exception_fp_ieee_div_zero 0
		.amdhsa_exception_fp_ieee_overflow 0
		.amdhsa_exception_fp_ieee_underflow 0
		.amdhsa_exception_fp_ieee_inexact 0
		.amdhsa_exception_int_div_zero 0
	.end_amdhsa_kernel
	.text
.Lfunc_end0:
	.size	geglu_kernel, .Lfunc_end0-geglu_kernel
	.cfi_endproc
                                        ; -- End function
	.set geglu_kernel.num_vgpr, 87
	.set geglu_kernel.num_agpr, 0
	.set geglu_kernel.numbered_sgpr, 91
	.set geglu_kernel.num_named_barrier, 0
	.set geglu_kernel.private_seg_size, 0
	.set geglu_kernel.uses_vcc, 1
	.set geglu_kernel.uses_flat_scratch, 0
	.set geglu_kernel.has_dyn_sized_stack, 0
	.set geglu_kernel.has_recursion, 0
	.set geglu_kernel.has_indirect_call, 0
	.section	.AMDGPU.csdata,"",@progbits
; Kernel info:
; codeLenInByte = 22084
; TotalNumSgprs: 97
; NumVgprs: 87
; NumAgprs: 0
; TotalNumVgprs: 87
; ScratchSize: 0
; MemoryBound: 0
; FloatMode: 240
; IeeeMode: 1
; LDSByteSize: 0 bytes/workgroup (compile time only)
; SGPRBlocks: 12
; VGPRBlocks: 10
; NumSGPRsForWavesPerEU: 97
; NumVGPRsForWavesPerEU: 87
; AccumOffset: 88
; Occupancy: 5
; WaveLimiterHint : 0
; COMPUTE_PGM_RSRC2:SCRATCH_EN: 0
; COMPUTE_PGM_RSRC2:USER_SGPR: 16
; COMPUTE_PGM_RSRC2:TRAP_HANDLER: 0
; COMPUTE_PGM_RSRC2:TGID_X_EN: 1
; COMPUTE_PGM_RSRC2:TGID_Y_EN: 1
; COMPUTE_PGM_RSRC2:TGID_Z_EN: 0
; COMPUTE_PGM_RSRC2:TIDIG_COMP_CNT: 0
; COMPUTE_PGM_RSRC3_GFX90A:ACCUM_OFFSET: 21
; COMPUTE_PGM_RSRC3_GFX90A:TG_SPLIT: 0
	.text
	.p2alignl 6, 3212836864
	.fill 256, 4, 3212836864
	.section	.AMDGPU.gpr_maximums,"",@progbits
	.set amdgpu.max_num_vgpr, 0
	.set amdgpu.max_num_agpr, 0
	.set amdgpu.max_num_sgpr, 0
	.set amdgpu.max_num_named_barrier, 0
	.text
	.section	.debug_abbrev,"",@progbits
	.byte	1                               ; Abbreviation Code
	.byte	17                              ; DW_TAG_compile_unit
	.byte	0                               ; DW_CHILDREN_no
	.byte	37                              ; DW_AT_producer
	.byte	14                              ; DW_FORM_strp
	.byte	19                              ; DW_AT_language
	.byte	5                               ; DW_FORM_data2
	.byte	3                               ; DW_AT_name
	.byte	14                              ; DW_FORM_strp
	.byte	16                              ; DW_AT_stmt_list
	.byte	23                              ; DW_FORM_sec_offset
	.byte	27                              ; DW_AT_comp_dir
	.byte	14                              ; DW_FORM_strp
	.byte	17                              ; DW_AT_low_pc
	.byte	1                               ; DW_FORM_addr
	.byte	18                              ; DW_AT_high_pc
	.byte	6                               ; DW_FORM_data4
	.byte	0                               ; EOM(1)
	.byte	0                               ; EOM(2)
	.byte	0                               ; EOM(3)
	.section	.debug_info,"",@progbits
.Lcu_begin0:
	.long	.Ldebug_info_end0-.Ldebug_info_start0 ; Length of Unit
.Ldebug_info_start0:
	.short	4                               ; DWARF version number
	.long	.debug_abbrev                   ; Offset Into Abbrev. Section
	.byte	8                               ; Address Size (in bytes)
	.byte	1                               ; Abbrev [1] 0xb:0x1f DW_TAG_compile_unit
	.long	.Linfo_string0                  ; DW_AT_producer
	.short	2                               ; DW_AT_language
	.long	.Linfo_string1                  ; DW_AT_name
	.long	.Lline_table_start0             ; DW_AT_stmt_list
	.long	.Linfo_string2                  ; DW_AT_comp_dir
	.quad	.Lfunc_begin0                   ; DW_AT_low_pc
	.long	.Lfunc_end0-.Lfunc_begin0       ; DW_AT_high_pc
.Ldebug_info_end0:
	.section	.debug_str,"MS",@progbits,1
.Linfo_string0:
	.asciz	"triton"                        ; string offset=0
.Linfo_string1:
	.asciz	"geglu_aot.py"                  ; string offset=7
.Linfo_string2:
	.asciz	"/root/src/amdgpu-assembly/repos/FlagOpen__FlagGems/triton_aot_kernels" ; string offset=20
	.section	".note.GNU-stack","",@progbits
	.amdgpu_metadata
---
amdhsa.kernels:
  - .agpr_count:     0
    .args:
      - .address_space:  global
        .offset:         0
        .size:           8
        .value_kind:     global_buffer
      - .address_space:  global
        .offset:         8
        .size:           8
        .value_kind:     global_buffer
      - .offset:         16
        .size:           4
        .value_kind:     by_value
      - .offset:         20
        .size:           4
        .value_kind:     by_value
      - .offset:         24
        .size:           4
        .value_kind:     by_value
      - .offset:         28
        .size:           4
        .value_kind:     by_value
      - .offset:         32
        .size:           4
        .value_kind:     by_value
      - .offset:         36
        .size:           4
        .value_kind:     by_value
      - .address_space:  global
        .offset:         40
        .size:           8
        .value_kind:     global_buffer
      - .address_space:  global
        .offset:         48
        .size:           8
        .value_kind:     global_buffer
    .group_segment_fixed_size: 0
    .kernarg_segment_align: 8
    .kernarg_segment_size: 56
    .max_flat_workgroup_size: 256
    .name:           geglu_kernel
    .private_segment_fixed_size: 0
    .sgpr_count:     97
    .sgpr_spill_count: 0
    .symbol:         geglu_kernel.kd
    .uniform_work_group_size: 1
    .uses_dynamic_stack: false
    .vgpr_count:     87
    .vgpr_spill_count: 0
    .wavefront_size: 64
amdhsa.target:   amdgcn-amd-amdhsa--gfx950
amdhsa.version:
  - 1
  - 2
...

	.end_amdgpu_metadata
	.section	.debug_line,"",@progbits
.Lline_table_start0:
